;; amdgpu-corpus repo=ROCm/rocFFT kind=compiled arch=gfx1030 opt=O3
	.text
	.amdgcn_target "amdgcn-amd-amdhsa--gfx1030"
	.amdhsa_code_object_version 6
	.protected	fft_rtc_back_len1989_factors_17_13_9_wgs_153_tpt_153_halfLds_dp_op_CI_CI_sbrr_dirReg ; -- Begin function fft_rtc_back_len1989_factors_17_13_9_wgs_153_tpt_153_halfLds_dp_op_CI_CI_sbrr_dirReg
	.globl	fft_rtc_back_len1989_factors_17_13_9_wgs_153_tpt_153_halfLds_dp_op_CI_CI_sbrr_dirReg
	.p2align	8
	.type	fft_rtc_back_len1989_factors_17_13_9_wgs_153_tpt_153_halfLds_dp_op_CI_CI_sbrr_dirReg,@function
fft_rtc_back_len1989_factors_17_13_9_wgs_153_tpt_153_halfLds_dp_op_CI_CI_sbrr_dirReg: ; @fft_rtc_back_len1989_factors_17_13_9_wgs_153_tpt_153_halfLds_dp_op_CI_CI_sbrr_dirReg
; %bb.0:
	s_clause 0x2
	s_load_dwordx4 s[16:19], s[4:5], 0x18
	s_load_dwordx4 s[8:11], s[4:5], 0x0
	;; [unrolled: 1-line block ×3, first 2 shown]
	v_mul_u32_u24_e32 v1, 0x1ad, v0
	v_mov_b32_e32 v3, 0
	s_waitcnt lgkmcnt(0)
	s_load_dwordx2 s[20:21], s[16:17], 0x0
	s_load_dwordx2 s[2:3], s[18:19], 0x0
	v_cmp_lt_u64_e64 s0, s[10:11], 2
	v_add_nc_u32_sdwa v5, s6, v1 dst_sel:DWORD dst_unused:UNUSED_PAD src0_sel:DWORD src1_sel:WORD_1
	v_mov_b32_e32 v1, 0
	v_mov_b32_e32 v6, v3
	;; [unrolled: 1-line block ×3, first 2 shown]
	s_and_b32 vcc_lo, exec_lo, s0
	s_cbranch_vccnz .LBB0_8
; %bb.1:
	s_load_dwordx2 s[0:1], s[4:5], 0x10
	v_mov_b32_e32 v1, 0
	v_mov_b32_e32 v2, 0
	s_add_u32 s6, s18, 8
	s_addc_u32 s7, s19, 0
	s_add_u32 s22, s16, 8
	s_addc_u32 s23, s17, 0
	v_mov_b32_e32 v99, v2
	v_mov_b32_e32 v98, v1
	s_mov_b64 s[26:27], 1
	s_waitcnt lgkmcnt(0)
	s_add_u32 s24, s0, 8
	s_addc_u32 s25, s1, 0
.LBB0_2:                                ; =>This Inner Loop Header: Depth=1
	s_load_dwordx2 s[28:29], s[24:25], 0x0
                                        ; implicit-def: $vgpr100_vgpr101
	s_mov_b32 s0, exec_lo
	s_waitcnt lgkmcnt(0)
	v_or_b32_e32 v4, s29, v6
	v_cmpx_ne_u64_e32 0, v[3:4]
	s_xor_b32 s1, exec_lo, s0
	s_cbranch_execz .LBB0_4
; %bb.3:                                ;   in Loop: Header=BB0_2 Depth=1
	v_cvt_f32_u32_e32 v4, s28
	v_cvt_f32_u32_e32 v7, s29
	s_sub_u32 s0, 0, s28
	s_subb_u32 s30, 0, s29
	v_fmac_f32_e32 v4, 0x4f800000, v7
	v_rcp_f32_e32 v4, v4
	v_mul_f32_e32 v4, 0x5f7ffffc, v4
	v_mul_f32_e32 v7, 0x2f800000, v4
	v_trunc_f32_e32 v7, v7
	v_fmac_f32_e32 v4, 0xcf800000, v7
	v_cvt_u32_f32_e32 v7, v7
	v_cvt_u32_f32_e32 v4, v4
	v_mul_lo_u32 v8, s0, v7
	v_mul_hi_u32 v9, s0, v4
	v_mul_lo_u32 v10, s30, v4
	v_add_nc_u32_e32 v8, v9, v8
	v_mul_lo_u32 v9, s0, v4
	v_add_nc_u32_e32 v8, v8, v10
	v_mul_hi_u32 v10, v4, v9
	v_mul_lo_u32 v11, v4, v8
	v_mul_hi_u32 v12, v4, v8
	v_mul_hi_u32 v13, v7, v9
	v_mul_lo_u32 v9, v7, v9
	v_mul_hi_u32 v14, v7, v8
	v_mul_lo_u32 v8, v7, v8
	v_add_co_u32 v10, vcc_lo, v10, v11
	v_add_co_ci_u32_e32 v11, vcc_lo, 0, v12, vcc_lo
	v_add_co_u32 v9, vcc_lo, v10, v9
	v_add_co_ci_u32_e32 v9, vcc_lo, v11, v13, vcc_lo
	v_add_co_ci_u32_e32 v10, vcc_lo, 0, v14, vcc_lo
	v_add_co_u32 v8, vcc_lo, v9, v8
	v_add_co_ci_u32_e32 v9, vcc_lo, 0, v10, vcc_lo
	v_add_co_u32 v4, vcc_lo, v4, v8
	v_add_co_ci_u32_e32 v7, vcc_lo, v7, v9, vcc_lo
	v_mul_hi_u32 v8, s0, v4
	v_mul_lo_u32 v10, s30, v4
	v_mul_lo_u32 v9, s0, v7
	v_add_nc_u32_e32 v8, v8, v9
	v_mul_lo_u32 v9, s0, v4
	v_add_nc_u32_e32 v8, v8, v10
	v_mul_hi_u32 v10, v4, v9
	v_mul_lo_u32 v11, v4, v8
	v_mul_hi_u32 v12, v4, v8
	v_mul_hi_u32 v13, v7, v9
	v_mul_lo_u32 v9, v7, v9
	v_mul_hi_u32 v14, v7, v8
	v_mul_lo_u32 v8, v7, v8
	v_add_co_u32 v10, vcc_lo, v10, v11
	v_add_co_ci_u32_e32 v11, vcc_lo, 0, v12, vcc_lo
	v_add_co_u32 v9, vcc_lo, v10, v9
	v_add_co_ci_u32_e32 v9, vcc_lo, v11, v13, vcc_lo
	v_add_co_ci_u32_e32 v10, vcc_lo, 0, v14, vcc_lo
	v_add_co_u32 v8, vcc_lo, v9, v8
	v_add_co_ci_u32_e32 v9, vcc_lo, 0, v10, vcc_lo
	v_add_co_u32 v4, vcc_lo, v4, v8
	v_add_co_ci_u32_e32 v11, vcc_lo, v7, v9, vcc_lo
	v_mul_hi_u32 v13, v5, v4
	v_mad_u64_u32 v[9:10], null, v6, v4, 0
	v_mad_u64_u32 v[7:8], null, v5, v11, 0
	v_mad_u64_u32 v[11:12], null, v6, v11, 0
	v_add_co_u32 v4, vcc_lo, v13, v7
	v_add_co_ci_u32_e32 v7, vcc_lo, 0, v8, vcc_lo
	v_add_co_u32 v4, vcc_lo, v4, v9
	v_add_co_ci_u32_e32 v4, vcc_lo, v7, v10, vcc_lo
	v_add_co_ci_u32_e32 v7, vcc_lo, 0, v12, vcc_lo
	v_add_co_u32 v4, vcc_lo, v4, v11
	v_add_co_ci_u32_e32 v9, vcc_lo, 0, v7, vcc_lo
	v_mul_lo_u32 v10, s29, v4
	v_mad_u64_u32 v[7:8], null, s28, v4, 0
	v_mul_lo_u32 v11, s28, v9
	v_sub_co_u32 v7, vcc_lo, v5, v7
	v_add3_u32 v8, v8, v11, v10
	v_sub_nc_u32_e32 v10, v6, v8
	v_subrev_co_ci_u32_e64 v10, s0, s29, v10, vcc_lo
	v_add_co_u32 v11, s0, v4, 2
	v_add_co_ci_u32_e64 v12, s0, 0, v9, s0
	v_sub_co_u32 v13, s0, v7, s28
	v_sub_co_ci_u32_e32 v8, vcc_lo, v6, v8, vcc_lo
	v_subrev_co_ci_u32_e64 v10, s0, 0, v10, s0
	v_cmp_le_u32_e32 vcc_lo, s28, v13
	v_cmp_eq_u32_e64 s0, s29, v8
	v_cndmask_b32_e64 v13, 0, -1, vcc_lo
	v_cmp_le_u32_e32 vcc_lo, s29, v10
	v_cndmask_b32_e64 v14, 0, -1, vcc_lo
	v_cmp_le_u32_e32 vcc_lo, s28, v7
	;; [unrolled: 2-line block ×3, first 2 shown]
	v_cndmask_b32_e64 v15, 0, -1, vcc_lo
	v_cmp_eq_u32_e32 vcc_lo, s29, v10
	v_cndmask_b32_e64 v7, v15, v7, s0
	v_cndmask_b32_e32 v10, v14, v13, vcc_lo
	v_add_co_u32 v13, vcc_lo, v4, 1
	v_add_co_ci_u32_e32 v14, vcc_lo, 0, v9, vcc_lo
	v_cmp_ne_u32_e32 vcc_lo, 0, v10
	v_cndmask_b32_e32 v8, v14, v12, vcc_lo
	v_cndmask_b32_e32 v10, v13, v11, vcc_lo
	v_cmp_ne_u32_e32 vcc_lo, 0, v7
	v_cndmask_b32_e32 v101, v9, v8, vcc_lo
	v_cndmask_b32_e32 v100, v4, v10, vcc_lo
.LBB0_4:                                ;   in Loop: Header=BB0_2 Depth=1
	s_andn2_saveexec_b32 s0, s1
	s_cbranch_execz .LBB0_6
; %bb.5:                                ;   in Loop: Header=BB0_2 Depth=1
	v_cvt_f32_u32_e32 v4, s28
	s_sub_i32 s1, 0, s28
	v_mov_b32_e32 v101, v3
	v_rcp_iflag_f32_e32 v4, v4
	v_mul_f32_e32 v4, 0x4f7ffffe, v4
	v_cvt_u32_f32_e32 v4, v4
	v_mul_lo_u32 v7, s1, v4
	v_mul_hi_u32 v7, v4, v7
	v_add_nc_u32_e32 v4, v4, v7
	v_mul_hi_u32 v4, v5, v4
	v_mul_lo_u32 v7, v4, s28
	v_add_nc_u32_e32 v8, 1, v4
	v_sub_nc_u32_e32 v7, v5, v7
	v_subrev_nc_u32_e32 v9, s28, v7
	v_cmp_le_u32_e32 vcc_lo, s28, v7
	v_cndmask_b32_e32 v7, v7, v9, vcc_lo
	v_cndmask_b32_e32 v4, v4, v8, vcc_lo
	v_cmp_le_u32_e32 vcc_lo, s28, v7
	v_add_nc_u32_e32 v8, 1, v4
	v_cndmask_b32_e32 v100, v4, v8, vcc_lo
.LBB0_6:                                ;   in Loop: Header=BB0_2 Depth=1
	s_or_b32 exec_lo, exec_lo, s0
	v_mul_lo_u32 v4, v101, s28
	v_mul_lo_u32 v9, v100, s29
	s_load_dwordx2 s[0:1], s[22:23], 0x0
	v_mad_u64_u32 v[7:8], null, v100, s28, 0
	s_load_dwordx2 s[28:29], s[6:7], 0x0
	s_add_u32 s26, s26, 1
	s_addc_u32 s27, s27, 0
	s_add_u32 s6, s6, 8
	s_addc_u32 s7, s7, 0
	s_add_u32 s22, s22, 8
	v_add3_u32 v4, v8, v9, v4
	v_sub_co_u32 v5, vcc_lo, v5, v7
	s_addc_u32 s23, s23, 0
	s_add_u32 s24, s24, 8
	v_sub_co_ci_u32_e32 v4, vcc_lo, v6, v4, vcc_lo
	s_addc_u32 s25, s25, 0
	s_waitcnt lgkmcnt(0)
	v_mul_lo_u32 v6, s0, v4
	v_mul_lo_u32 v7, s1, v5
	v_mad_u64_u32 v[1:2], null, s0, v5, v[1:2]
	v_mul_lo_u32 v4, s28, v4
	v_mul_lo_u32 v8, s29, v5
	v_mad_u64_u32 v[98:99], null, s28, v5, v[98:99]
	v_cmp_ge_u64_e64 s0, s[26:27], s[10:11]
	v_add3_u32 v2, v7, v2, v6
	v_add3_u32 v99, v8, v99, v4
	s_and_b32 vcc_lo, exec_lo, s0
	s_cbranch_vccnz .LBB0_9
; %bb.7:                                ;   in Loop: Header=BB0_2 Depth=1
	v_mov_b32_e32 v5, v100
	v_mov_b32_e32 v6, v101
	s_branch .LBB0_2
.LBB0_8:
	v_mov_b32_e32 v99, v2
	v_mov_b32_e32 v101, v6
	;; [unrolled: 1-line block ×4, first 2 shown]
.LBB0_9:
	s_load_dwordx2 s[0:1], s[4:5], 0x28
	v_mul_hi_u32 v3, 0x1ac5702, v0
	s_lshl_b64 s[6:7], s[10:11], 3
                                        ; implicit-def: $vgpr12_vgpr13
                                        ; implicit-def: $vgpr16_vgpr17
                                        ; implicit-def: $vgpr20_vgpr21
                                        ; implicit-def: $vgpr24_vgpr25
                                        ; implicit-def: $vgpr28_vgpr29
                                        ; implicit-def: $vgpr32_vgpr33
                                        ; implicit-def: $vgpr36_vgpr37
                                        ; implicit-def: $vgpr40_vgpr41
                                        ; implicit-def: $vgpr44_vgpr45
                                        ; implicit-def: $vgpr48_vgpr49
                                        ; implicit-def: $vgpr52_vgpr53
                                        ; implicit-def: $vgpr56_vgpr57
                                        ; implicit-def: $vgpr72_vgpr73
                                        ; implicit-def: $vgpr60_vgpr61
                                        ; implicit-def: $vgpr64_vgpr65
                                        ; implicit-def: $vgpr68_vgpr69
                                        ; implicit-def: $vgpr8_vgpr9
	s_add_u32 s4, s18, s6
	s_addc_u32 s5, s19, s7
	v_mul_u32_u24_e32 v3, 0x99, v3
	v_sub_nc_u32_e32 v176, v0, v3
	s_waitcnt lgkmcnt(0)
	v_cmp_gt_u64_e32 vcc_lo, s[0:1], v[100:101]
	v_cmp_gt_u32_e64 s0, 0x75, v176
	s_and_b32 s1, vcc_lo, s0
	s_and_saveexec_b32 s10, s1
	s_cbranch_execz .LBB0_11
; %bb.10:
	s_add_u32 s6, s16, s6
	s_addc_u32 s7, s17, s7
	v_mad_u64_u32 v[3:4], null, s20, v176, 0
	s_load_dwordx2 s[6:7], s[6:7], 0x0
	v_add_nc_u32_e32 v16, 0x75, v176
	v_add_nc_u32_e32 v18, 0xea, v176
	v_lshlrev_b64 v[0:1], 4, v[1:2]
	v_add_nc_u32_e32 v19, 0x15f, v176
	v_add_nc_u32_e32 v20, 0x1d4, v176
	v_mad_u64_u32 v[5:6], null, s20, v16, 0
	v_mad_u64_u32 v[7:8], null, s20, v18, 0
	v_mov_b32_e32 v2, v4
	v_mad_u64_u32 v[9:10], null, s20, v19, 0
	v_add_nc_u32_e32 v23, 0x492, v176
	v_add_nc_u32_e32 v25, 0x507, v176
	v_mad_u64_u32 v[13:14], null, s21, v176, v[2:3]
	v_mov_b32_e32 v2, v6
	v_mov_b32_e32 v6, v8
	;; [unrolled: 1-line block ×3, first 2 shown]
	s_waitcnt lgkmcnt(0)
	v_mul_lo_u32 v4, s7, v100
	v_mul_lo_u32 v17, s6, v101
	v_mad_u64_u32 v[11:12], null, s6, v100, 0
	v_mad_u64_u32 v[14:15], null, s20, v20, 0
	;; [unrolled: 1-line block ×3, first 2 shown]
	v_add_nc_u32_e32 v27, 0x57c, v176
	v_add_nc_u32_e32 v29, 0x5f1, v176
	v_add3_u32 v12, v12, v17, v4
	v_mad_u64_u32 v[16:17], null, s21, v16, v[2:3]
	v_mad_u64_u32 v[17:18], null, s21, v18, v[6:7]
	v_lshlrev_b64 v[10:11], 4, v[11:12]
	v_mov_b32_e32 v4, v13
	v_mad_u64_u32 v[12:13], null, s21, v19, v[8:9]
	v_mov_b32_e32 v6, v16
	v_add_nc_u32_e32 v18, 0x249, v176
	v_lshlrev_b64 v[2:3], 4, v[3:4]
	v_add_co_u32 v4, s1, s12, v10
	v_add_co_ci_u32_e64 v10, s1, s13, v11, s1
	v_mov_b32_e32 v8, v17
	v_add_co_u32 v33, s1, v4, v0
	v_add_co_ci_u32_e64 v34, s1, v10, v1, s1
	v_lshlrev_b64 v[0:1], 4, v[5:6]
	v_lshlrev_b64 v[5:6], 4, v[7:8]
	v_mov_b32_e32 v10, v12
	v_mov_b32_e32 v4, v15
	v_add_co_u32 v2, s1, v33, v2
	v_add_co_ci_u32_e64 v3, s1, v34, v3, s1
	v_lshlrev_b64 v[7:8], 4, v[9:10]
	v_mad_u64_u32 v[9:10], null, s21, v20, v[4:5]
	v_mad_u64_u32 v[10:11], null, s20, v18, 0
	v_add_co_u32 v0, s1, v33, v0
	v_add_co_ci_u32_e64 v1, s1, v34, v1, s1
	v_add_co_u32 v4, s1, v33, v5
	v_add_co_ci_u32_e64 v5, s1, v34, v6, s1
	v_mov_b32_e32 v6, v11
	v_add_co_u32 v12, s1, v33, v7
	v_add_co_ci_u32_e64 v13, s1, v34, v8, s1
	v_mov_b32_e32 v15, v9
	v_mad_u64_u32 v[18:19], null, s21, v18, v[6:7]
	s_clause 0x3
	global_load_dwordx4 v[6:9], v[2:3], off
	global_load_dwordx4 v[66:69], v[0:1], off
	;; [unrolled: 1-line block ×4, first 2 shown]
	v_add_nc_u32_e32 v20, 0x2be, v176
	v_add_nc_u32_e32 v5, 0x333, v176
	v_lshlrev_b64 v[0:1], 4, v[14:15]
	v_add_nc_u32_e32 v30, 0x666, v176
	v_add_nc_u32_e32 v35, 0x6db, v176
	v_mad_u64_u32 v[16:17], null, s20, v20, 0
	v_mad_u64_u32 v[3:4], null, s20, v5, 0
	v_mov_b32_e32 v11, v18
	v_add_nc_u32_e32 v18, 0x3a8, v176
	v_add_co_u32 v0, s1, v33, v0
	v_mov_b32_e32 v2, v17
	v_lshlrev_b64 v[10:11], 4, v[10:11]
	v_add_co_ci_u32_e64 v1, s1, v34, v1, s1
	v_mad_u64_u32 v[12:13], null, s21, v20, v[2:3]
	v_mad_u64_u32 v[13:14], null, s20, v18, 0
	v_mov_b32_e32 v2, v4
	v_add_co_u32 v10, s1, v33, v10
	v_add_co_ci_u32_e64 v11, s1, v34, v11, s1
	v_mov_b32_e32 v17, v12
	v_mad_u64_u32 v[4:5], null, s21, v5, v[2:3]
	v_mov_b32_e32 v2, v14
	v_add_nc_u32_e32 v5, 0x41d, v176
	v_lshlrev_b64 v[14:15], 4, v[16:17]
	s_clause 0x1
	global_load_dwordx4 v[70:73], v[0:1], off
	global_load_dwordx4 v[54:57], v[10:11], off
	v_mad_u64_u32 v[16:17], null, s21, v18, v[2:3]
	v_mad_u64_u32 v[17:18], null, s20, v5, 0
	v_add_co_u32 v19, s1, v33, v14
	v_add_co_ci_u32_e64 v20, s1, v34, v15, s1
	v_lshlrev_b64 v[2:3], 4, v[3:4]
	v_mov_b32_e32 v14, v16
	v_mov_b32_e32 v4, v18
	v_mad_u64_u32 v[15:16], null, s20, v23, 0
	v_lshlrev_b64 v[12:13], 4, v[13:14]
	v_mad_u64_u32 v[4:5], null, s21, v5, v[4:5]
	v_add_co_u32 v2, s1, v33, v2
	v_mov_b32_e32 v5, v16
	v_add_co_ci_u32_e64 v3, s1, v34, v3, s1
	v_add_co_u32 v12, s1, v33, v12
	v_mov_b32_e32 v18, v4
	v_add_co_ci_u32_e64 v13, s1, v34, v13, s1
	s_clause 0x1
	global_load_dwordx4 v[50:53], v[19:20], off
	global_load_dwordx4 v[46:49], v[2:3], off
	v_lshlrev_b64 v[17:18], 4, v[17:18]
	v_add_co_u32 v17, s1, v33, v17
	v_add_co_ci_u32_e64 v18, s1, v34, v18, s1
	s_clause 0x1
	global_load_dwordx4 v[42:45], v[12:13], off
	global_load_dwordx4 v[38:41], v[17:18], off
	s_waitcnt vmcnt(9)
	v_mad_u64_u32 v[4:5], null, s21, v23, v[5:6]
	v_mov_b32_e32 v5, v22
	v_mad_u64_u32 v[23:24], null, s20, v27, 0
	v_mad_u64_u32 v[25:26], null, s21, v25, v[5:6]
	v_mov_b32_e32 v16, v4
	v_mov_b32_e32 v4, v24
	v_lshlrev_b64 v[14:15], 4, v[15:16]
	v_mov_b32_e32 v22, v25
	v_mad_u64_u32 v[4:5], null, s21, v27, v[4:5]
	v_mad_u64_u32 v[25:26], null, s20, v29, 0
	v_lshlrev_b64 v[21:22], 4, v[21:22]
	v_mad_u64_u32 v[27:28], null, s20, v30, 0
	v_add_co_u32 v14, s1, v33, v14
	v_mov_b32_e32 v24, v4
	v_add_co_ci_u32_e64 v15, s1, v34, v15, s1
	v_add_co_u32 v4, s1, v33, v21
	v_mov_b32_e32 v16, v26
	v_add_co_ci_u32_e64 v5, s1, v34, v22, s1
	v_lshlrev_b64 v[21:22], 4, v[23:24]
	v_mov_b32_e32 v23, v28
	v_mad_u64_u32 v[28:29], null, s21, v29, v[16:17]
	v_mad_u64_u32 v[23:24], null, s21, v30, v[23:24]
	;; [unrolled: 1-line block ×3, first 2 shown]
	v_add_nc_u32_e32 v24, 0x750, v176
	v_mov_b32_e32 v26, v28
	v_add_co_u32 v21, s1, v33, v21
	v_mov_b32_e32 v28, v23
	v_mad_u64_u32 v[31:32], null, s20, v24, 0
	v_mov_b32_e32 v16, v30
	v_lshlrev_b64 v[2:3], 4, v[25:26]
	v_lshlrev_b64 v[19:20], 4, v[27:28]
	v_add_co_ci_u32_e64 v22, s1, v34, v22, s1
	v_mad_u64_u32 v[0:1], null, s21, v35, v[16:17]
	v_mov_b32_e32 v1, v32
	v_mad_u64_u32 v[10:11], null, s21, v24, v[1:2]
	v_mov_b32_e32 v30, v0
	v_add_co_u32 v0, s1, v33, v2
	v_add_co_ci_u32_e64 v1, s1, v34, v3, s1
	v_lshlrev_b64 v[2:3], 4, v[29:30]
	v_mov_b32_e32 v32, v10
	v_add_co_u32 v10, s1, v33, v19
	v_add_co_ci_u32_e64 v11, s1, v34, v20, s1
	v_lshlrev_b64 v[19:20], 4, v[31:32]
	v_add_co_u32 v2, s1, v33, v2
	v_add_co_ci_u32_e64 v3, s1, v34, v3, s1
	v_add_co_u32 v12, s1, v33, v19
	v_add_co_ci_u32_e64 v13, s1, v34, v20, s1
	s_clause 0x6
	global_load_dwordx4 v[34:37], v[14:15], off
	global_load_dwordx4 v[30:33], v[4:5], off
	;; [unrolled: 1-line block ×7, first 2 shown]
.LBB0_11:
	s_or_b32 exec_lo, exec_lo, s10
	s_waitcnt vmcnt(0)
	v_add_f64 v[4:5], v[68:69], -v[12:13]
	s_mov_b32 s26, 0x5d8e7cdc
	s_mov_b32 s38, 0x2a9d6da3
	;; [unrolled: 1-line block ×8, first 2 shown]
	v_add_f64 v[74:75], v[10:11], v[66:67]
	v_add_f64 v[76:77], v[64:65], -v[16:17]
	s_mov_b32 s10, 0x370991
	s_mov_b32 s6, 0x75d4884
	;; [unrolled: 1-line block ×11, first 2 shown]
	v_mul_f64 v[140:141], v[4:5], s[38:39]
	v_mul_f64 v[144:145], v[4:5], s[34:35]
	;; [unrolled: 1-line block ×4, first 2 shown]
	s_mov_b32 s31, 0xbfc7851a
	v_add_f64 v[82:83], v[14:15], v[62:63]
	v_add_f64 v[78:79], v[60:61], -v[20:21]
	s_mov_b32 s20, 0x6ed5f1bb
	s_mov_b32 s18, 0x7faef3
	;; [unrolled: 1-line block ×3, first 2 shown]
	v_mul_f64 v[86:87], v[76:77], s[38:39]
	v_mul_f64 v[148:149], v[76:77], s[28:29]
	;; [unrolled: 1-line block ×4, first 2 shown]
	s_mov_b32 s21, 0xbfe348c8
	s_mov_b32 s19, 0xbfef7484
	;; [unrolled: 1-line block ×5, first 2 shown]
	v_add_f64 v[88:89], v[18:19], v[58:59]
	v_add_f64 v[84:85], v[72:73], -v[24:25]
	s_mov_b32 s22, 0xc61f0d01
	v_fma_f64 v[0:1], v[74:75], s[6:7], -v[140:141]
	v_fma_f64 v[2:3], v[74:75], s[16:17], -v[144:145]
	;; [unrolled: 1-line block ×4, first 2 shown]
	s_mov_b32 s23, 0xbfd183b1
	s_mov_b32 s41, 0x3fd71e95
	v_mul_f64 v[92:93], v[78:79], s[34:35]
	v_mul_f64 v[152:153], v[78:79], s[36:37]
	;; [unrolled: 1-line block ×4, first 2 shown]
	v_fma_f64 v[102:103], v[82:83], s[6:7], -v[86:87]
	v_fma_f64 v[104:105], v[82:83], s[12:13], -v[148:149]
	;; [unrolled: 1-line block ×4, first 2 shown]
	s_mov_b32 s40, s26
	s_mov_b32 s52, 0x4363dd80
	;; [unrolled: 1-line block ×6, first 2 shown]
	v_mul_f64 v[96:97], v[84:85], s[28:29]
	v_mul_f64 v[154:155], v[84:85], s[30:31]
	v_add_f64 v[0:1], v[6:7], v[0:1]
	v_add_f64 v[2:3], v[6:7], v[2:3]
	;; [unrolled: 1-line block ×5, first 2 shown]
	v_add_f64 v[90:91], v[56:57], -v[28:29]
	v_mul_f64 v[164:165], v[84:85], s[42:43]
	v_mul_f64 v[134:135], v[84:85], s[40:41]
	v_fma_f64 v[114:115], v[88:89], s[16:17], -v[92:93]
	v_fma_f64 v[116:117], v[88:89], s[20:21], -v[152:153]
	;; [unrolled: 1-line block ×4, first 2 shown]
	s_mov_b32 s44, s38
	s_mov_b32 s24, 0x910ea3b9
	;; [unrolled: 1-line block ×9, first 2 shown]
	v_add_f64 v[0:1], v[104:105], v[0:1]
	v_add_f64 v[2:3], v[106:107], v[2:3]
	;; [unrolled: 1-line block ×5, first 2 shown]
	v_add_f64 v[106:107], v[52:53], -v[32:33]
	v_mul_f64 v[112:113], v[90:91], s[50:51]
	v_mul_f64 v[168:169], v[90:91], s[52:53]
	;; [unrolled: 1-line block ×4, first 2 shown]
	v_fma_f64 v[124:125], v[94:95], s[12:13], -v[96:97]
	v_fma_f64 v[128:129], v[94:95], s[18:19], -v[154:155]
	;; [unrolled: 1-line block ×4, first 2 shown]
	v_add_f64 v[110:111], v[48:49], -v[36:37]
	v_add_f64 v[0:1], v[116:117], v[0:1]
	v_add_f64 v[2:3], v[118:119], v[2:3]
	;; [unrolled: 1-line block ×5, first 2 shown]
	v_mul_f64 v[118:119], v[106:107], s[36:37]
	v_mul_f64 v[172:173], v[106:107], s[42:43]
	;; [unrolled: 1-line block ×4, first 2 shown]
	v_fma_f64 v[146:147], v[108:109], s[22:23], -v[112:113]
	v_fma_f64 v[158:159], v[108:109], s[24:25], -v[168:169]
	;; [unrolled: 1-line block ×4, first 2 shown]
	v_add_f64 v[122:123], v[34:35], v[46:47]
	v_add_f64 v[116:117], v[44:45], -v[40:41]
	v_mul_f64 v[162:163], v[110:111], s[54:55]
	v_mul_f64 v[166:167], v[110:111], s[28:29]
	v_add_f64 v[0:1], v[128:129], v[0:1]
	v_add_f64 v[2:3], v[130:131], v[2:3]
	;; [unrolled: 1-line block ×4, first 2 shown]
	v_mul_f64 v[124:125], v[110:111], s[48:49]
	v_mul_f64 v[142:143], v[110:111], s[56:57]
	v_fma_f64 v[179:180], v[114:115], s[20:21], -v[118:119]
	v_fma_f64 v[181:182], v[114:115], s[22:23], -v[172:173]
	;; [unrolled: 1-line block ×4, first 2 shown]
	v_add_f64 v[128:129], v[38:39], v[42:43]
	v_mul_f64 v[130:131], v[116:117], s[30:31]
	v_fma_f64 v[187:188], v[122:123], s[16:17], -v[162:163]
	v_fma_f64 v[189:190], v[122:123], s[12:13], -v[166:167]
	v_add_f64 v[0:1], v[158:159], v[0:1]
	v_add_f64 v[2:3], v[160:161], v[2:3]
	v_add_f64 v[104:105], v[177:178], v[104:105]
	v_add_f64 v[102:103], v[146:147], v[102:103]
	v_mul_f64 v[158:159], v[116:117], s[40:41]
	v_mul_f64 v[160:161], v[116:117], s[48:49]
	v_mul_f64 v[146:147], v[116:117], s[44:45]
	v_fma_f64 v[177:178], v[122:123], s[24:25], -v[124:125]
	v_fma_f64 v[191:192], v[122:123], s[20:21], -v[142:143]
	v_add_f64 v[0:1], v[181:182], v[0:1]
	v_add_f64 v[2:3], v[183:184], v[2:3]
	v_add_f64 v[104:105], v[185:186], v[104:105]
	v_add_f64 v[102:103], v[179:180], v[102:103]
	v_fma_f64 v[179:180], v[128:129], s[10:11], -v[158:159]
	v_fma_f64 v[181:182], v[128:129], s[24:25], -v[160:161]
	;; [unrolled: 1-line block ×4, first 2 shown]
	v_add_f64 v[0:1], v[187:188], v[0:1]
	v_add_f64 v[2:3], v[189:190], v[2:3]
	;; [unrolled: 1-line block ×8, first 2 shown]
	s_and_saveexec_b32 s1, s0
	s_cbranch_execz .LBB0_13
; %bb.12:
	v_mul_f64 v[177:178], v[114:115], s[10:11]
	v_mad_u32_u24 v185, 0x88, v176, 0
	s_mov_b32 s59, 0x3fefdd0d
	s_mov_b32 s58, s28
	v_add_f64 v[174:175], v[174:175], v[177:178]
	v_mul_f64 v[177:178], v[88:89], s[18:19]
	v_add_f64 v[156:157], v[156:157], v[177:178]
	v_mul_f64 v[177:178], v[74:75], s[16:17]
	;; [unrolled: 2-line block ×3, first 2 shown]
	v_add_f64 v[144:145], v[6:7], v[144:145]
	v_add_f64 v[150:151], v[150:151], v[177:178]
	v_mul_f64 v[177:178], v[94:95], s[22:23]
	v_add_f64 v[144:145], v[150:151], v[144:145]
	v_add_f64 v[164:165], v[164:165], v[177:178]
	v_mul_f64 v[177:178], v[108:109], s[6:7]
	v_mul_f64 v[150:151], v[122:123], s[12:13]
	v_add_f64 v[144:145], v[156:157], v[144:145]
	v_add_f64 v[170:171], v[170:171], v[177:178]
	v_mul_f64 v[177:178], v[114:115], s[22:23]
	v_add_f64 v[150:151], v[166:167], v[150:151]
	v_add_f64 v[144:145], v[164:165], v[144:145]
	;; [unrolled: 1-line block ×3, first 2 shown]
	v_mul_f64 v[177:178], v[88:89], s[20:21]
	v_add_f64 v[144:145], v[170:171], v[144:145]
	v_add_f64 v[152:153], v[152:153], v[177:178]
	v_mul_f64 v[177:178], v[74:75], s[6:7]
	v_add_f64 v[144:145], v[174:175], v[144:145]
	v_add_f64 v[140:141], v[140:141], v[177:178]
	;; [unrolled: 3-line block ×3, first 2 shown]
	v_add_f64 v[148:149], v[148:149], v[177:178]
	v_mul_f64 v[177:178], v[94:95], s[18:19]
	v_add_f64 v[140:141], v[148:149], v[140:141]
	v_add_f64 v[154:155], v[154:155], v[177:178]
	v_mul_f64 v[148:149], v[108:109], s[24:25]
	v_add_f64 v[140:141], v[152:153], v[140:141]
	v_mul_f64 v[152:153], v[122:123], s[16:17]
	v_add_f64 v[148:149], v[168:169], v[148:149]
	v_add_f64 v[140:141], v[154:155], v[140:141]
	;; [unrolled: 1-line block ×3, first 2 shown]
	v_mul_f64 v[154:155], v[128:129], s[10:11]
	v_add_f64 v[140:141], v[148:149], v[140:141]
	v_mul_f64 v[148:149], v[128:129], s[24:25]
	v_add_f64 v[154:155], v[158:159], v[154:155]
	v_add_f64 v[140:141], v[172:173], v[140:141]
	;; [unrolled: 1-line block ×5, first 2 shown]
	v_mul_f64 v[148:149], v[82:83], s[24:25]
	v_add_f64 v[140:141], v[154:155], v[140:141]
	v_mul_f64 v[154:155], v[82:83], s[22:23]
	v_fma_f64 v[150:151], v[76:77], s[52:53], v[148:149]
	ds_write2_b64 v185, v[140:141], v[144:145] offset0:2 offset1:3
	v_mul_f64 v[140:141], v[114:115], s[24:25]
	v_mul_f64 v[144:145], v[74:75], s[22:23]
	v_fma_f64 v[156:157], v[76:77], s[42:43], v[154:155]
	v_add_f64 v[138:139], v[138:139], v[140:141]
	v_mul_f64 v[140:141], v[88:89], s[22:23]
	v_add_f64 v[132:133], v[132:133], v[140:141]
	v_mul_f64 v[140:141], v[74:75], s[12:13]
	;; [unrolled: 2-line block ×3, first 2 shown]
	v_add_f64 v[120:121], v[6:7], v[120:121]
	v_add_f64 v[126:127], v[126:127], v[140:141]
	v_mul_f64 v[140:141], v[94:95], s[10:11]
	v_add_f64 v[120:121], v[126:127], v[120:121]
	v_add_f64 v[134:135], v[134:135], v[140:141]
	v_mul_f64 v[140:141], v[108:109], s[16:17]
	v_mul_f64 v[126:127], v[88:89], s[6:7]
	v_add_f64 v[120:121], v[132:133], v[120:121]
	v_mul_f64 v[132:133], v[94:95], s[16:17]
	v_add_f64 v[136:137], v[136:137], v[140:141]
	;; [unrolled: 2-line block ×6, first 2 shown]
	v_fma_f64 v[146:147], v[4:5], s[50:51], v[144:145]
	v_add_f64 v[120:121], v[138:139], v[120:121]
	v_mul_f64 v[138:139], v[122:123], s[10:11]
	v_add_f64 v[146:147], v[6:7], v[146:147]
	v_add_f64 v[120:121], v[140:141], v[120:121]
	v_mul_f64 v[140:141], v[128:129], s[20:21]
	v_add_f64 v[146:147], v[150:151], v[146:147]
	v_fma_f64 v[150:151], v[78:79], s[44:45], v[126:127]
	v_add_f64 v[120:121], v[142:143], v[120:121]
	v_add_f64 v[146:147], v[150:151], v[146:147]
	v_fma_f64 v[150:151], v[84:85], s[34:35], v[132:133]
	v_add_f64 v[146:147], v[150:151], v[146:147]
	v_fma_f64 v[150:151], v[90:91], s[30:31], v[134:135]
	;; [unrolled: 2-line block ×5, first 2 shown]
	v_add_f64 v[146:147], v[150:151], v[146:147]
	ds_write2_b64 v185, v[120:121], v[146:147] offset0:4 offset1:5
	v_mul_f64 v[120:121], v[74:75], s[24:25]
	v_mul_f64 v[146:147], v[82:83], s[16:17]
	v_fma_f64 v[142:143], v[4:5], s[48:49], v[120:121]
	v_fma_f64 v[150:151], v[76:77], s[54:55], v[146:147]
	;; [unrolled: 1-line block ×3, first 2 shown]
	v_add_f64 v[142:143], v[6:7], v[142:143]
	v_add_f64 v[120:121], v[6:7], v[120:121]
	;; [unrolled: 1-line block ×3, first 2 shown]
	v_mul_f64 v[150:151], v[74:75], s[20:21]
	v_fma_f64 v[152:153], v[4:5], s[36:37], v[150:151]
	v_add_f64 v[152:153], v[6:7], v[152:153]
	v_add_f64 v[152:153], v[156:157], v[152:153]
	v_mul_f64 v[156:157], v[88:89], s[12:13]
	v_fma_f64 v[158:159], v[78:79], s[28:29], v[156:157]
	v_add_f64 v[142:143], v[158:159], v[142:143]
	v_mul_f64 v[158:159], v[88:89], s[10:11]
	v_fma_f64 v[160:161], v[78:79], s[26:27], v[158:159]
	;; [unrolled: 3-line block ×12, first 2 shown]
	v_add_f64 v[152:153], v[181:182], v[152:153]
	v_mul_f64 v[181:182], v[82:83], s[10:11]
	ds_write2_b64 v185, v[152:153], v[142:143] offset0:6 offset1:7
	v_mul_f64 v[142:143], v[74:75], s[18:19]
	v_mul_f64 v[74:75], v[74:75], s[10:11]
	v_fma_f64 v[183:184], v[76:77], s[26:27], v[181:182]
	v_fma_f64 v[181:182], v[76:77], s[40:41], v[181:182]
	;; [unrolled: 1-line block ×4, first 2 shown]
	v_add_f64 v[74:75], v[80:81], v[74:75]
	v_mul_f64 v[80:81], v[82:83], s[6:7]
	v_mul_f64 v[82:83], v[108:109], s[22:23]
	v_add_f64 v[152:153], v[6:7], v[152:153]
	v_add_f64 v[142:143], v[6:7], v[142:143]
	;; [unrolled: 1-line block ×7, first 2 shown]
	v_mul_f64 v[181:182], v[88:89], s[24:25]
	v_mul_f64 v[88:89], v[88:89], s[16:17]
	v_add_f64 v[74:75], v[80:81], v[74:75]
	v_mul_f64 v[80:81], v[94:95], s[12:13]
	v_fma_f64 v[183:184], v[78:79], s[52:53], v[181:182]
	v_add_f64 v[88:89], v[92:93], v[88:89]
	v_fma_f64 v[181:182], v[78:79], s[48:49], v[181:182]
	v_add_f64 v[80:81], v[96:97], v[80:81]
	v_add_f64 v[152:153], v[183:184], v[152:153]
	;; [unrolled: 1-line block ×4, first 2 shown]
	v_mul_f64 v[181:182], v[94:95], s[6:7]
	v_add_f64 v[74:75], v[80:81], v[74:75]
	v_mul_f64 v[80:81], v[114:115], s[20:21]
	v_fma_f64 v[183:184], v[84:85], s[38:39], v[181:182]
	v_fma_f64 v[181:182], v[84:85], s[44:45], v[181:182]
	v_add_f64 v[74:75], v[82:83], v[74:75]
	v_add_f64 v[80:81], v[118:119], v[80:81]
	v_mul_f64 v[82:83], v[122:123], s[24:25]
	v_add_f64 v[142:143], v[181:182], v[142:143]
	v_mul_f64 v[181:182], v[108:109], s[20:21]
	v_add_f64 v[152:153], v[183:184], v[152:153]
	v_add_f64 v[74:75], v[80:81], v[74:75]
	;; [unrolled: 1-line block ×3, first 2 shown]
	v_mul_f64 v[80:81], v[128:129], s[18:19]
	v_fma_f64 v[183:184], v[90:91], s[56:57], v[181:182]
	v_fma_f64 v[181:182], v[90:91], s[36:37], v[181:182]
	v_add_f64 v[74:75], v[82:83], v[74:75]
	v_add_f64 v[80:81], v[130:131], v[80:81]
	;; [unrolled: 1-line block ×4, first 2 shown]
	v_mul_f64 v[181:182], v[114:115], s[16:17]
	v_add_f64 v[74:75], v[80:81], v[74:75]
	v_add_f64 v[80:81], v[66:67], v[6:7]
	v_fma_f64 v[183:184], v[106:107], s[34:35], v[181:182]
	v_fma_f64 v[181:182], v[106:107], s[54:55], v[181:182]
	v_add_f64 v[80:81], v[62:63], v[80:81]
	v_add_f64 v[152:153], v[183:184], v[152:153]
	;; [unrolled: 1-line block ×3, first 2 shown]
	v_mul_f64 v[181:182], v[122:123], s[22:23]
	v_add_f64 v[80:81], v[58:59], v[80:81]
	v_fma_f64 v[183:184], v[110:111], s[42:43], v[181:182]
	v_fma_f64 v[181:182], v[110:111], s[50:51], v[181:182]
	v_add_f64 v[80:81], v[70:71], v[80:81]
	v_add_f64 v[152:153], v[183:184], v[152:153]
	;; [unrolled: 1-line block ×3, first 2 shown]
	v_mul_f64 v[181:182], v[128:129], s[12:13]
	v_add_f64 v[80:81], v[54:55], v[80:81]
	v_fma_f64 v[183:184], v[116:117], s[28:29], v[181:182]
	v_fma_f64 v[181:182], v[116:117], s[58:59], v[181:182]
	v_add_f64 v[80:81], v[50:51], v[80:81]
	v_add_f64 v[152:153], v[183:184], v[152:153]
	;; [unrolled: 1-line block ×4, first 2 shown]
	ds_write2_b64 v185, v[142:143], v[152:153] offset0:8 offset1:9
	v_fma_f64 v[142:143], v[76:77], s[34:35], v[146:147]
	v_fma_f64 v[146:147], v[76:77], s[50:51], v[154:155]
	;; [unrolled: 1-line block ×3, first 2 shown]
	v_add_f64 v[80:81], v[42:43], v[80:81]
	v_add_f64 v[120:121], v[142:143], v[120:121]
	v_fma_f64 v[142:143], v[4:5], s[56:57], v[150:151]
	v_fma_f64 v[4:5], v[4:5], s[42:43], v[144:145]
	v_add_f64 v[80:81], v[38:39], v[80:81]
	v_add_f64 v[142:143], v[6:7], v[142:143]
	;; [unrolled: 1-line block ×3, first 2 shown]
	v_fma_f64 v[6:7], v[84:85], s[54:55], v[132:133]
	v_add_f64 v[80:81], v[34:35], v[80:81]
	v_add_f64 v[142:143], v[146:147], v[142:143]
	v_fma_f64 v[146:147], v[78:79], s[58:59], v[156:157]
	v_add_f64 v[4:5], v[76:77], v[4:5]
	v_add_f64 v[80:81], v[30:31], v[80:81]
	;; [unrolled: 1-line block ×3, first 2 shown]
	v_fma_f64 v[146:147], v[78:79], s[40:41], v[158:159]
	v_add_f64 v[80:81], v[26:27], v[80:81]
	v_add_f64 v[142:143], v[146:147], v[142:143]
	v_fma_f64 v[146:147], v[84:85], s[36:37], v[160:161]
	v_add_f64 v[80:81], v[22:23], v[80:81]
	v_add_f64 v[120:121], v[146:147], v[120:121]
	;; [unrolled: 3-line block ×5, first 2 shown]
	v_fma_f64 v[146:147], v[106:107], s[46:47], v[168:169]
	ds_write2_b64 v185, v[80:81], v[74:75] offset1:1
	v_fma_f64 v[74:75], v[78:79], s[38:39], v[126:127]
	v_add_f64 v[120:121], v[146:147], v[120:121]
	v_fma_f64 v[146:147], v[106:107], s[44:45], v[170:171]
	v_add_f64 v[4:5], v[74:75], v[4:5]
	;; [unrolled: 2-line block ×10, first 2 shown]
	v_add_f64 v[142:143], v[146:147], v[142:143]
	v_add_f64 v[4:5], v[6:7], v[4:5]
	ds_write2_b64 v185, v[120:121], v[142:143] offset0:10 offset1:11
	ds_write2_b64 v185, v[4:5], v[104:105] offset0:12 offset1:13
	;; [unrolled: 1-line block ×3, first 2 shown]
	ds_write_b64 v185, v[2:3] offset:128
.LBB0_13:
	s_or_b32 exec_lo, exec_lo, s1
	v_add_f64 v[128:129], v[66:67], -v[10:11]
	v_add_f64 v[66:67], v[62:63], -v[14:15]
	v_add_f64 v[130:131], v[12:13], v[68:69]
	v_add_f64 v[108:109], v[58:59], -v[18:19]
	v_add_f64 v[110:111], v[16:17], v[64:65]
	v_add_f64 v[106:107], v[20:21], v[60:61]
	v_add_f64 v[14:15], v[70:71], -v[22:23]
	v_add_f64 v[70:71], v[24:25], v[72:73]
	v_lshl_add_u32 v177, v176, 3, 0
	s_waitcnt lgkmcnt(0)
	s_barrier
	buffer_gl0_inv
	v_add_nc_u32_e32 v178, 0x800, v177
	v_add_nc_u32_e32 v181, 0x2400, v177
	;; [unrolled: 1-line block ×5, first 2 shown]
	v_mul_f64 v[146:147], v[128:129], s[26:27]
	v_mul_f64 v[144:145], v[128:129], s[38:39]
	;; [unrolled: 1-line block ×16, first 2 shown]
	v_fma_f64 v[4:5], v[130:131], s[10:11], v[146:147]
	v_fma_f64 v[6:7], v[130:131], s[6:7], v[144:145]
	v_fma_f64 v[10:11], v[130:131], s[16:17], v[142:143]
	v_fma_f64 v[18:19], v[130:131], s[12:13], v[140:141]
	v_fma_f64 v[22:23], v[110:111], s[6:7], v[118:119]
	v_fma_f64 v[58:59], v[110:111], s[12:13], v[116:117]
	v_fma_f64 v[62:63], v[110:111], s[20:21], v[114:115]
	v_fma_f64 v[74:75], v[110:111], s[18:19], v[112:113]
	v_fma_f64 v[78:79], v[106:107], s[20:21], v[124:125]
	v_fma_f64 v[80:81], v[106:107], s[18:19], v[122:123]
	v_fma_f64 v[82:83], v[106:107], s[22:23], v[120:121]
	v_fma_f64 v[84:85], v[70:71], s[10:11], v[132:133]
	v_add_f64 v[4:5], v[8:9], v[4:5]
	v_add_f64 v[6:7], v[8:9], v[6:7]
	;; [unrolled: 1-line block ×4, first 2 shown]
	v_add_f64 v[18:19], v[54:55], -v[26:27]
	v_fma_f64 v[26:27], v[106:107], s[16:17], v[126:127]
	v_add_f64 v[54:55], v[28:29], v[56:57]
	v_add_f64 v[4:5], v[22:23], v[4:5]
	;; [unrolled: 1-line block ×5, first 2 shown]
	v_add_f64 v[22:23], v[50:51], -v[30:31]
	v_mul_f64 v[152:153], v[18:19], s[50:51]
	v_mul_f64 v[150:151], v[18:19], s[52:53]
	;; [unrolled: 1-line block ×4, first 2 shown]
	v_fma_f64 v[62:63], v[70:71], s[12:13], v[138:139]
	v_fma_f64 v[74:75], v[70:71], s[18:19], v[136:137]
	;; [unrolled: 1-line block ×3, first 2 shown]
	v_add_f64 v[30:31], v[32:33], v[52:53]
	v_add_f64 v[4:5], v[26:27], v[4:5]
	;; [unrolled: 1-line block ×5, first 2 shown]
	v_add_f64 v[26:27], v[46:47], -v[34:35]
	v_mul_f64 v[160:161], v[22:23], s[36:37]
	v_mul_f64 v[158:159], v[22:23], s[42:43]
	;; [unrolled: 1-line block ×4, first 2 shown]
	v_fma_f64 v[78:79], v[54:55], s[22:23], v[152:153]
	v_fma_f64 v[80:81], v[54:55], s[24:25], v[150:151]
	;; [unrolled: 1-line block ×4, first 2 shown]
	v_add_f64 v[46:47], v[36:37], v[48:49]
	v_add_f64 v[34:35], v[42:43], -v[38:39]
	v_add_f64 v[38:39], v[40:41], v[44:45]
	v_add_f64 v[4:5], v[62:63], v[4:5]
	;; [unrolled: 1-line block ×5, first 2 shown]
	v_mul_f64 v[166:167], v[26:27], s[48:49]
	v_mul_f64 v[164:165], v[26:27], s[54:55]
	;; [unrolled: 1-line block ×4, first 2 shown]
	v_fma_f64 v[62:63], v[30:31], s[20:21], v[160:161]
	v_fma_f64 v[74:75], v[30:31], s[22:23], v[158:159]
	;; [unrolled: 1-line block ×4, first 2 shown]
	v_mul_f64 v[168:169], v[34:35], s[30:31]
	v_mul_f64 v[170:171], v[34:35], s[40:41]
	;; [unrolled: 1-line block ×4, first 2 shown]
	v_add_f64 v[4:5], v[78:79], v[4:5]
	v_add_f64 v[6:7], v[80:81], v[6:7]
	;; [unrolled: 1-line block ×4, first 2 shown]
	v_fma_f64 v[78:79], v[46:47], s[24:25], v[166:167]
	v_fma_f64 v[80:81], v[46:47], s[16:17], v[164:165]
	;; [unrolled: 1-line block ×6, first 2 shown]
	v_add_f64 v[4:5], v[62:63], v[4:5]
	v_add_f64 v[6:7], v[74:75], v[6:7]
	;; [unrolled: 1-line block ×4, first 2 shown]
	v_fma_f64 v[62:63], v[38:39], s[18:19], v[168:169]
	v_fma_f64 v[84:85], v[38:39], s[10:11], v[170:171]
	ds_read2_b64 v[74:77], v177 offset1:153
	v_add_f64 v[4:5], v[78:79], v[4:5]
	v_add_f64 v[183:184], v[80:81], v[6:7]
	;; [unrolled: 1-line block ×4, first 2 shown]
	ds_read2_b64 v[94:97], v178 offset0:50 offset1:203
	ds_read2_b64 v[86:89], v179 offset0:100 offset1:253
	;; [unrolled: 1-line block ×3, first 2 shown]
	v_add_f64 v[6:7], v[62:63], v[4:5]
	v_add_f64 v[4:5], v[84:85], v[183:184]
	;; [unrolled: 1-line block ×4, first 2 shown]
	ds_read2_b64 v[82:85], v181 offset0:72 offset1:225
	ds_read2_b64 v[90:93], v182 offset0:58 offset1:211
	ds_read_b64 v[10:11], v177 offset:14688
	s_waitcnt lgkmcnt(0)
	s_barrier
	buffer_gl0_inv
	s_and_saveexec_b32 s33, s0
	s_cbranch_execz .LBB0_15
; %bb.14:
	v_add_f64 v[68:69], v[68:69], v[8:9]
	s_mov_b32 s0, 0x923c349f
	s_mov_b32 s28, 0x6c9a05f6
	;; [unrolled: 1-line block ×19, first 2 shown]
	v_add_f64 v[64:65], v[64:65], v[68:69]
	v_add_f64 v[60:61], v[60:61], v[64:65]
	;; [unrolled: 1-line block ×3, first 2 shown]
	v_mul_f64 v[72:73], v[110:111], s[20:21]
	v_add_f64 v[56:57], v[56:57], v[60:61]
	v_add_f64 v[72:73], v[72:73], -v[114:115]
	v_mul_f64 v[114:115], v[110:111], s[18:19]
	v_add_f64 v[52:53], v[52:53], v[56:57]
	v_add_f64 v[112:113], v[114:115], -v[112:113]
	v_mul_f64 v[114:115], v[106:107], s[16:17]
	v_add_f64 v[48:49], v[48:49], v[52:53]
	v_mul_f64 v[52:53], v[128:129], s[0:1]
	v_add_f64 v[114:115], v[114:115], -v[126:127]
	v_mul_f64 v[126:127], v[70:71], s[22:23]
	v_add_f64 v[44:45], v[44:45], v[48:49]
	v_mul_f64 v[48:49], v[128:129], s[38:39]
	v_fma_f64 v[68:69], v[130:131], s[26:27], -v[52:53]
	v_fma_f64 v[52:53], v[130:131], s[26:27], v[52:53]
	v_add_f64 v[126:127], v[126:127], -v[134:135]
	v_mul_f64 v[134:135], v[54:55], s[6:7]
	v_add_f64 v[40:41], v[40:41], v[44:45]
	v_mul_f64 v[44:45], v[128:129], s[34:35]
	v_fma_f64 v[64:65], v[130:131], s[40:41], -v[48:49]
	v_fma_f64 v[48:49], v[130:131], s[40:41], v[48:49]
	v_add_f64 v[68:69], v[8:9], v[68:69]
	v_add_f64 v[134:135], v[134:135], -v[148:149]
	v_mul_f64 v[148:149], v[46:47], s[12:13]
	v_add_f64 v[36:37], v[36:37], v[40:41]
	v_mul_f64 v[40:41], v[128:129], s[28:29]
	v_fma_f64 v[60:61], v[130:131], s[36:37], -v[44:45]
	v_fma_f64 v[44:45], v[130:131], s[36:37], v[44:45]
	v_add_f64 v[64:65], v[8:9], v[64:65]
	v_add_f64 v[48:49], v[8:9], v[48:49]
	v_mul_f64 v[128:129], v[70:71], s[10:11]
	v_add_f64 v[148:149], v[148:149], -v[162:163]
	v_add_f64 v[32:33], v[32:33], v[36:37]
	v_mul_f64 v[36:37], v[130:131], s[12:13]
	v_fma_f64 v[56:57], v[130:131], s[30:31], -v[40:41]
	v_fma_f64 v[40:41], v[130:131], s[30:31], v[40:41]
	v_add_f64 v[60:61], v[8:9], v[60:61]
	v_add_f64 v[44:45], v[8:9], v[44:45]
	v_add_f64 v[128:129], v[128:129], -v[132:133]
	v_mul_f64 v[132:133], v[54:55], s[24:25]
	v_add_f64 v[28:29], v[28:29], v[32:33]
	v_mul_f64 v[32:33], v[130:131], s[16:17]
	v_add_f64 v[36:37], v[36:37], -v[140:141]
	v_add_f64 v[56:57], v[8:9], v[56:57]
	v_add_f64 v[40:41], v[8:9], v[40:41]
	v_mul_f64 v[140:141], v[30:31], s[10:11]
	v_add_f64 v[132:133], v[132:133], -v[150:151]
	v_mul_f64 v[150:151], v[46:47], s[20:21]
	v_add_f64 v[24:25], v[24:25], v[28:29]
	v_mul_f64 v[28:29], v[130:131], s[6:7]
	v_add_f64 v[32:33], v[32:33], -v[142:143]
	v_add_f64 v[36:37], v[8:9], v[36:37]
	v_mul_f64 v[142:143], v[30:31], s[24:25]
	v_add_f64 v[140:141], v[140:141], -v[156:157]
	v_mul_f64 v[156:157], v[38:39], s[6:7]
	v_add_f64 v[42:43], v[150:151], -v[42:43]
	v_mul_f64 v[150:151], v[38:39], s[18:19]
	v_add_f64 v[20:21], v[20:21], v[24:25]
	v_mul_f64 v[24:25], v[130:131], s[10:11]
	v_add_f64 v[28:29], v[28:29], -v[144:145]
	v_add_f64 v[32:33], v[8:9], v[32:33]
	v_mul_f64 v[130:131], v[54:55], s[22:23]
	v_add_f64 v[142:143], v[142:143], -v[154:155]
	v_mul_f64 v[144:145], v[46:47], s[24:25]
	v_mul_f64 v[154:155], v[38:39], s[24:25]
	v_add_f64 v[156:157], v[156:157], -v[174:175]
	v_add_f64 v[150:151], v[150:151], -v[168:169]
	v_mul_f64 v[174:175], v[108:109], s[38:39]
	s_mov_b32 s24, 0x75d4884
	s_mov_b32 s25, 0x3fe7a5f6
	v_add_f64 v[16:17], v[16:17], v[20:21]
	v_add_f64 v[24:25], v[24:25], -v[146:147]
	v_add_f64 v[28:29], v[8:9], v[28:29]
	v_mul_f64 v[20:21], v[110:111], s[6:7]
	s_mov_b32 s6, 0x7c9e640b
	v_add_f64 v[130:131], v[130:131], -v[152:153]
	v_mul_f64 v[152:153], v[38:39], s[10:11]
	s_mov_b32 s11, 0x3fe0d888
	s_mov_b32 s7, 0x3feca52d
	;; [unrolled: 1-line block ×3, first 2 shown]
	v_mul_f64 v[146:147], v[46:47], s[16:17]
	v_mul_f64 v[162:163], v[66:67], s[10:11]
	s_mov_b32 s10, 0x2b2883cd
	s_mov_b32 s11, 0x3fdc86fa
	v_add_f64 v[144:145], v[144:145], -v[166:167]
	v_add_f64 v[154:155], v[154:155], -v[172:173]
	s_mov_b32 s42, s6
	v_fma_f64 v[187:188], v[106:107], s[40:41], -v[174:175]
	v_fma_f64 v[174:175], v[106:107], s[40:41], v[174:175]
	v_add_f64 v[12:13], v[12:13], v[16:17]
	v_add_f64 v[24:25], v[8:9], v[24:25]
	;; [unrolled: 1-line block ×3, first 2 shown]
	v_mul_f64 v[52:53], v[110:111], s[12:13]
	v_add_f64 v[20:21], v[20:21], -v[118:119]
	v_mul_f64 v[118:119], v[106:107], s[18:19]
	v_add_f64 v[152:153], v[152:153], -v[170:171]
	v_lshl_add_u32 v16, v176, 7, v177
	v_add_f64 v[146:147], v[146:147], -v[164:165]
	v_fma_f64 v[168:169], v[110:111], s[40:41], -v[162:163]
	v_fma_f64 v[162:163], v[110:111], s[40:41], v[162:163]
	v_add_f64 v[52:53], v[52:53], -v[116:117]
	v_mul_f64 v[116:117], v[106:107], s[20:21]
	v_add_f64 v[118:119], v[118:119], -v[122:123]
	v_mul_f64 v[122:123], v[106:107], s[22:23]
	v_add_f64 v[20:21], v[20:21], v[24:25]
	v_add_f64 v[8:9], v[162:163], v[8:9]
	;; [unrolled: 1-line block ×3, first 2 shown]
	v_add_f64 v[116:117], v[116:117], -v[124:125]
	v_mul_f64 v[124:125], v[70:71], s[18:19]
	v_add_f64 v[120:121], v[122:123], -v[120:121]
	v_mul_f64 v[122:123], v[70:71], s[12:13]
	s_mov_b32 s13, 0x3feec746
	s_mov_b32 s19, 0x3fd71e95
	;; [unrolled: 1-line block ×4, first 2 shown]
	v_add_f64 v[28:29], v[72:73], v[32:33]
	v_add_f64 v[32:33], v[112:113], v[36:37]
	;; [unrolled: 1-line block ×3, first 2 shown]
	v_mul_f64 v[68:69], v[14:15], s[42:43]
	v_add_f64 v[20:21], v[114:115], v[20:21]
	v_add_f64 v[24:25], v[116:117], v[24:25]
	v_add_f64 v[124:125], v[124:125], -v[136:137]
	v_mul_f64 v[136:137], v[54:55], s[16:17]
	v_add_f64 v[122:123], v[122:123], -v[138:139]
	v_mul_f64 v[138:139], v[30:31], s[22:23]
	s_mov_b32 s22, 0x2a9d6da3
	s_mov_b32 s23, 0x3fe58eea
	;; [unrolled: 1-line block ×4, first 2 shown]
	v_add_f64 v[28:29], v[118:119], v[28:29]
	v_mul_f64 v[172:173], v[108:109], s[16:17]
	s_mov_b32 s17, 0x3fefdd0d
	v_fma_f64 v[112:113], v[70:71], s[10:11], -v[68:69]
	v_fma_f64 v[68:69], v[70:71], s[10:11], v[68:69]
	v_add_f64 v[32:33], v[120:121], v[32:33]
	v_add_f64 v[24:25], v[124:125], v[24:25]
	v_add_f64 v[50:51], v[136:137], -v[50:51]
	v_mul_f64 v[136:137], v[30:31], s[20:21]
	v_add_f64 v[138:139], v[138:139], -v[158:159]
	v_mul_f64 v[158:159], v[66:67], s[6:7]
	s_mov_b32 s20, 0x370991
	s_mov_b32 s21, 0x3fedd6d0
	v_add_f64 v[20:21], v[122:123], v[20:21]
	v_add_f64 v[28:29], v[126:127], v[28:29]
	;; [unrolled: 1-line block ×4, first 2 shown]
	v_add_f64 v[136:137], v[136:137], -v[160:161]
	v_mul_f64 v[160:161], v[66:67], s[18:19]
	v_mul_f64 v[66:67], v[66:67], s[12:13]
	s_mov_b32 s19, 0xbfd71e95
	v_fma_f64 v[164:165], v[110:111], s[10:11], -v[158:159]
	v_fma_f64 v[158:159], v[110:111], s[10:11], v[158:159]
	s_mov_b32 s12, 0x3259b75e
	s_mov_b32 s13, 0x3fb79ee6
	v_add_f64 v[28:29], v[134:135], v[28:29]
	v_fma_f64 v[185:186], v[106:107], s[12:13], -v[172:173]
	v_fma_f64 v[172:173], v[106:107], s[12:13], v[172:173]
	v_add_f64 v[20:21], v[130:131], v[20:21]
	v_add_f64 v[24:25], v[138:139], v[24:25]
	v_fma_f64 v[166:167], v[110:111], s[20:21], -v[160:161]
	v_fma_f64 v[160:161], v[110:111], s[20:21], v[160:161]
	v_fma_f64 v[170:171], v[110:111], s[26:27], -v[66:67]
	v_fma_f64 v[66:67], v[110:111], s[26:27], v[66:67]
	v_mul_f64 v[110:111], v[108:109], s[22:23]
	v_mul_f64 v[108:109], v[108:109], s[18:19]
	v_add_f64 v[48:49], v[158:159], v[48:49]
	v_add_f64 v[28:29], v[140:141], v[28:29]
	;; [unrolled: 1-line block ×8, first 2 shown]
	v_fma_f64 v[183:184], v[106:107], s[24:25], -v[110:111]
	v_fma_f64 v[110:111], v[106:107], s[24:25], v[110:111]
	v_fma_f64 v[189:190], v[106:107], s[20:21], -v[108:109]
	v_fma_f64 v[106:107], v[106:107], s[20:21], v[108:109]
	v_add_f64 v[56:57], v[164:165], v[64:65]
	v_mul_f64 v[64:65], v[14:15], s[38:39]
	v_mul_f64 v[66:67], v[14:15], s[22:23]
	;; [unrolled: 1-line block ×3, first 2 shown]
	v_add_f64 v[48:49], v[172:173], v[48:49]
	s_mov_b32 s39, 0xbfe58eea
	s_mov_b32 s38, s22
	v_add_f64 v[28:29], v[148:149], v[28:29]
	v_add_f64 v[20:21], v[144:145], v[20:21]
	v_add_f64 v[24:25], v[152:153], v[24:25]
	v_add_f64 v[60:61], v[187:188], v[60:61]
	v_add_f64 v[44:45], v[174:175], v[44:45]
	v_add_f64 v[36:37], v[183:184], v[36:37]
	v_add_f64 v[8:9], v[110:111], v[8:9]
	v_add_f64 v[52:53], v[189:190], v[52:53]
	v_add_f64 v[40:41], v[106:107], v[40:41]
	v_add_f64 v[56:57], v[185:186], v[56:57]
	v_fma_f64 v[72:73], v[70:71], s[40:41], -v[64:65]
	v_fma_f64 v[64:65], v[70:71], s[40:41], v[64:65]
	v_fma_f64 v[108:109], v[70:71], s[24:25], -v[66:67]
	v_fma_f64 v[66:67], v[70:71], s[24:25], v[66:67]
	;; [unrolled: 2-line block ×3, first 2 shown]
	v_mul_f64 v[70:71], v[18:19], s[34:35]
	v_mul_f64 v[106:107], v[18:19], s[28:29]
	;; [unrolled: 1-line block ×4, first 2 shown]
	v_add_f64 v[20:21], v[150:151], v[20:21]
	v_add_f64 v[36:37], v[112:113], v[36:37]
	;; [unrolled: 1-line block ×5, first 2 shown]
	v_mul_f64 v[64:65], v[22:23], s[16:17]
	v_add_f64 v[44:45], v[66:67], v[44:45]
	v_add_f64 v[14:15], v[14:15], v[48:49]
	v_fma_f64 v[114:115], v[54:55], s[36:37], -v[70:71]
	v_fma_f64 v[70:71], v[54:55], s[36:37], v[70:71]
	v_fma_f64 v[116:117], v[54:55], s[30:31], -v[106:107]
	v_fma_f64 v[106:107], v[54:55], s[30:31], v[106:107]
	;; [unrolled: 2-line block ×4, first 2 shown]
	v_add_f64 v[54:55], v[158:159], v[56:57]
	v_add_f64 v[56:57], v[108:109], v[60:61]
	v_mul_f64 v[48:49], v[22:23], s[34:35]
	v_mul_f64 v[60:61], v[22:23], s[6:7]
	v_mul_f64 v[22:23], v[22:23], s[38:39]
	v_fma_f64 v[72:73], v[30:31], s[12:13], -v[64:65]
	v_fma_f64 v[64:65], v[30:31], s[12:13], v[64:65]
	v_add_f64 v[8:9], v[70:71], v[8:9]
	v_add_f64 v[44:45], v[106:107], v[44:45]
	;; [unrolled: 1-line block ×4, first 2 shown]
	v_mul_f64 v[18:19], v[26:27], s[34:35]
	v_fma_f64 v[66:67], v[30:31], s[36:37], -v[48:49]
	v_fma_f64 v[48:49], v[30:31], s[36:37], v[48:49]
	v_fma_f64 v[68:69], v[30:31], s[10:11], -v[60:61]
	v_fma_f64 v[60:61], v[30:31], s[10:11], v[60:61]
	;; [unrolled: 2-line block ×3, first 2 shown]
	v_add_f64 v[30:31], v[50:51], v[32:33]
	v_add_f64 v[32:33], v[114:115], v[36:37]
	;; [unrolled: 1-line block ×5, first 2 shown]
	v_mul_f64 v[54:55], v[26:27], s[22:23]
	v_mul_f64 v[56:57], v[26:27], s[0:1]
	;; [unrolled: 1-line block ×3, first 2 shown]
	v_add_f64 v[8:9], v[64:65], v[8:9]
	v_fma_f64 v[70:71], v[46:47], s[36:37], -v[18:19]
	v_fma_f64 v[18:19], v[46:47], s[36:37], v[18:19]
	v_add_f64 v[14:15], v[48:49], v[14:15]
	v_mul_f64 v[48:49], v[34:35], s[28:29]
	v_add_f64 v[44:45], v[60:61], v[44:45]
	v_add_f64 v[22:23], v[22:23], v[40:41]
	;; [unrolled: 1-line block ×6, first 2 shown]
	v_mul_f64 v[50:51], v[34:35], s[6:7]
	v_fma_f64 v[106:107], v[46:47], s[24:25], -v[54:55]
	v_fma_f64 v[54:55], v[46:47], s[24:25], v[54:55]
	v_fma_f64 v[112:113], v[46:47], s[20:21], -v[26:27]
	v_fma_f64 v[110:111], v[46:47], s[26:27], -v[56:57]
	v_fma_f64 v[56:57], v[46:47], s[26:27], v[56:57]
	v_fma_f64 v[26:27], v[46:47], s[20:21], v[26:27]
	v_add_f64 v[46:47], v[68:69], v[52:53]
	v_mul_f64 v[52:53], v[34:35], s[0:1]
	v_mul_f64 v[34:35], v[34:35], s[16:17]
	v_fma_f64 v[60:61], v[38:39], s[30:31], -v[48:49]
	v_fma_f64 v[48:49], v[38:39], s[30:31], v[48:49]
	v_add_f64 v[18:19], v[18:19], v[22:23]
	v_add_f64 v[30:31], v[42:43], v[30:31]
	;; [unrolled: 1-line block ×3, first 2 shown]
	v_fma_f64 v[64:65], v[38:39], s[10:11], -v[50:51]
	v_add_f64 v[22:23], v[106:107], v[40:41]
	v_fma_f64 v[50:51], v[38:39], s[10:11], v[50:51]
	v_add_f64 v[32:33], v[112:113], v[32:33]
	v_add_f64 v[14:15], v[54:55], v[14:15]
	;; [unrolled: 1-line block ×5, first 2 shown]
	v_fma_f64 v[66:67], v[38:39], s[26:27], -v[52:53]
	v_fma_f64 v[52:53], v[38:39], s[26:27], v[52:53]
	v_fma_f64 v[68:69], v[38:39], s[12:13], -v[34:35]
	v_fma_f64 v[34:35], v[38:39], s[12:13], v[34:35]
	v_add_f64 v[38:39], v[110:111], v[46:47]
	v_add_f64 v[28:29], v[156:157], v[30:31]
	;; [unrolled: 1-line block ×10, first 2 shown]
	ds_write2_b64 v16, v[58:59], v[4:5] offset0:14 offset1:15
	ds_write2_b64 v16, v[24:25], v[26:27] offset0:2 offset1:3
	;; [unrolled: 1-line block ×7, first 2 shown]
	ds_write2_b64 v16, v[12:13], v[20:21] offset1:1
	ds_write_b64 v16, v[6:7] offset:128
.LBB0_15:
	s_or_b32 exec_lo, exec_lo, s33
	v_and_b32_e32 v8, 0xff, v176
	v_mov_b32_e32 v9, 12
	s_load_dwordx2 s[4:5], s[4:5], 0x0
	s_waitcnt lgkmcnt(0)
	s_barrier
	v_mul_lo_u16 v8, 0xf1, v8
	buffer_gl0_inv
	s_mov_b32 s10, 0x4267c47c
	s_mov_b32 s6, 0x42a4c3d2
	;; [unrolled: 1-line block ×3, first 2 shown]
	v_lshrrev_b16 v24, 12, v8
	s_mov_b32 s11, 0xbfddbe06
	s_mov_b32 s7, 0xbfea55e2
	;; [unrolled: 1-line block ×4, first 2 shown]
	v_mul_lo_u16 v8, v24, 17
	s_mov_b32 s18, 0x24c2f84
	s_mov_b32 s17, 0xbfedeba7
	;; [unrolled: 1-line block ×4, first 2 shown]
	v_sub_nc_u16 v25, v176, v8
	s_mov_b32 s21, 0xbfcea1e5
	s_mov_b32 s28, 0xe00740e9
	;; [unrolled: 1-line block ×4, first 2 shown]
	v_mul_u32_u24_sdwa v8, v25, v9 dst_sel:DWORD dst_unused:UNUSED_PAD src0_sel:BYTE_0 src1_sel:DWORD
	s_mov_b32 s29, 0x3fec55a7
	s_mov_b32 s31, 0x3fe22d96
	;; [unrolled: 1-line block ×4, first 2 shown]
	v_lshlrev_b32_e32 v8, 4, v8
	s_mov_b32 s40, 0xd0032e0c
	s_mov_b32 s23, 0x3fe5384d
	;; [unrolled: 1-line block ×4, first 2 shown]
	s_clause 0xb
	global_load_dwordx4 v[12:15], v8, s[8:9]
	global_load_dwordx4 v[20:23], v8, s[8:9] offset:16
	global_load_dwordx4 v[26:29], v8, s[8:9] offset:32
	;; [unrolled: 1-line block ×11, first 2 shown]
	ds_read2_b64 v[16:19], v177 offset1:153
	ds_read2_b64 v[50:53], v178 offset0:50 offset1:203
	ds_read2_b64 v[54:57], v179 offset0:100 offset1:253
	;; [unrolled: 1-line block ×5, first 2 shown]
	ds_read_b64 v[8:9], v177 offset:14688
	s_mov_b32 s39, 0x3fedeba7
	s_mov_b32 s22, s18
	;; [unrolled: 1-line block ×13, first 2 shown]
	s_waitcnt vmcnt(0) lgkmcnt(0)
	s_barrier
	buffer_gl0_inv
	v_cmp_gt_u32_e64 s0, 0x44, v176
	v_mul_f64 v[60:61], v[18:19], v[14:15]
	v_mul_f64 v[14:15], v[76:77], v[14:15]
	v_mul_f64 v[72:73], v[50:51], v[22:23]
	v_mul_f64 v[132:133], v[52:53], v[28:29]
	v_mul_f64 v[22:23], v[94:95], v[22:23]
	v_mul_f64 v[134:135], v[54:55], v[36:37]
	v_mul_f64 v[136:137], v[56:57], v[40:41]
	v_mul_f64 v[138:139], v[88:89], v[40:41]
	v_mul_f64 v[28:29], v[96:97], v[28:29]
	v_mul_f64 v[140:141], v[92:93], v[44:45]
	v_mul_f64 v[150:151], v[90:91], v[70:71]
	v_mul_f64 v[152:153], v[128:129], v[70:71]
	v_mul_f64 v[36:37], v[86:87], v[36:37]
	v_mul_f64 v[142:143], v[120:121], v[48:49]
	v_mul_f64 v[146:147], v[122:123], v[66:67]
	v_mul_f64 v[148:149], v[80:81], v[66:67]
	v_mul_f64 v[44:45], v[130:131], v[44:45]
	v_mul_f64 v[154:155], v[126:127], v[114:115]
	v_mul_f64 v[156:157], v[124:125], v[118:119]
	v_mul_f64 v[144:145], v[78:79], v[48:49]
	v_mul_f64 v[114:115], v[84:85], v[114:115]
	v_mul_f64 v[118:119], v[82:83], v[118:119]
	v_fma_f64 v[106:107], v[76:77], v[12:13], v[60:61]
	v_mul_f64 v[60:61], v[10:11], v[32:33]
	v_fma_f64 v[110:111], v[18:19], v[12:13], -v[14:15]
	v_fma_f64 v[76:77], v[94:95], v[20:21], v[72:73]
	v_mul_f64 v[32:33], v[8:9], v[32:33]
	v_fma_f64 v[94:95], v[96:97], v[26:27], v[132:133]
	v_fma_f64 v[70:71], v[86:87], v[34:35], v[134:135]
	v_fma_f64 v[108:109], v[50:51], v[20:21], -v[22:23]
	v_fma_f64 v[52:53], v[52:53], v[26:27], -v[28:29]
	;; [unrolled: 1-line block ×3, first 2 shown]
	v_fma_f64 v[66:67], v[88:89], v[38:39], v[136:137]
	v_fma_f64 v[20:21], v[128:129], v[68:69], -v[150:151]
	v_fma_f64 v[50:51], v[54:55], v[34:35], -v[36:37]
	v_fma_f64 v[54:55], v[78:79], v[46:47], v[142:143]
	v_fma_f64 v[78:79], v[90:91], v[68:69], v[152:153]
	v_fma_f64 v[48:49], v[56:57], v[38:39], -v[138:139]
	v_fma_f64 v[86:87], v[92:93], v[42:43], v[44:45]
	v_fma_f64 v[72:73], v[84:85], v[112:113], v[154:155]
	;; [unrolled: 1-line block ×3, first 2 shown]
	v_fma_f64 v[46:47], v[120:121], v[46:47], -v[144:145]
	v_fma_f64 v[22:23], v[126:127], v[112:113], -v[114:115]
	;; [unrolled: 1-line block ×3, first 2 shown]
	v_add_f64 v[12:13], v[74:75], v[106:107]
	v_fma_f64 v[40:41], v[8:9], v[30:31], -v[60:61]
	v_fma_f64 v[60:61], v[80:81], v[64:65], v[146:147]
	v_fma_f64 v[44:45], v[122:123], v[64:65], -v[148:149]
	v_fma_f64 v[88:89], v[10:11], v[30:31], v[32:33]
	v_add_f64 v[26:27], v[52:53], -v[20:21]
	v_add_f64 v[30:31], v[94:95], v[78:79]
	v_add_f64 v[28:29], v[76:77], v[86:87]
	;; [unrolled: 1-line block ×4, first 2 shown]
	v_add_f64 v[34:35], v[50:51], -v[22:23]
	v_add_f64 v[38:39], v[48:49], -v[42:43]
	v_add_f64 v[8:9], v[12:13], v[76:77]
	v_add_f64 v[10:11], v[110:111], -v[40:41]
	v_add_f64 v[12:13], v[108:109], -v[18:19]
	;; [unrolled: 1-line block ×3, first 2 shown]
	v_add_f64 v[14:15], v[106:107], v[88:89]
	v_add_f64 v[56:57], v[54:55], v[60:61]
	v_mul_f64 v[120:121], v[26:27], s[12:13]
	v_mul_f64 v[122:123], v[26:27], s[20:21]
	;; [unrolled: 1-line block ×8, first 2 shown]
	v_add_f64 v[8:9], v[8:9], v[94:95]
	v_mul_f64 v[80:81], v[10:11], s[10:11]
	v_mul_f64 v[82:83], v[10:11], s[6:7]
	;; [unrolled: 1-line block ×12, first 2 shown]
	v_fma_f64 v[184:185], v[30:31], s[42:43], v[122:123]
	v_fma_f64 v[122:123], v[30:31], s[42:43], -v[122:123]
	v_fma_f64 v[186:187], v[30:31], s[36:37], v[124:125]
	v_fma_f64 v[124:125], v[30:31], s[36:37], -v[124:125]
	;; [unrolled: 2-line block ×4, first 2 shown]
	v_fma_f64 v[192:193], v[30:31], s[40:41], v[26:27]
	v_add_f64 v[8:9], v[8:9], v[70:71]
	v_fma_f64 v[160:161], v[14:15], s[28:29], v[80:81]
	v_fma_f64 v[162:163], v[14:15], s[30:31], v[82:83]
	v_fma_f64 v[82:83], v[14:15], s[30:31], -v[82:83]
	v_fma_f64 v[164:165], v[14:15], s[34:35], v[84:85]
	v_fma_f64 v[166:167], v[14:15], s[36:37], v[90:91]
	v_fma_f64 v[90:91], v[14:15], s[36:37], -v[90:91]
	v_fma_f64 v[168:169], v[14:15], s[40:41], v[92:93]
	v_fma_f64 v[170:171], v[14:15], s[42:43], v[10:11]
	v_fma_f64 v[10:11], v[14:15], s[42:43], -v[10:11]
	v_fma_f64 v[92:93], v[14:15], s[40:41], -v[92:93]
	v_fma_f64 v[84:85], v[14:15], s[34:35], -v[84:85]
	;; [unrolled: 1-line block ×3, first 2 shown]
	v_fma_f64 v[14:15], v[28:29], s[30:31], v[96:97]
	v_fma_f64 v[96:97], v[28:29], s[30:31], -v[96:97]
	v_fma_f64 v[172:173], v[28:29], s[36:37], v[112:113]
	v_fma_f64 v[112:113], v[28:29], s[36:37], -v[112:113]
	;; [unrolled: 2-line block ×4, first 2 shown]
	v_fma_f64 v[180:181], v[28:29], s[34:35], v[118:119]
	v_add_f64 v[8:9], v[8:9], v[66:67]
	v_fma_f64 v[118:119], v[28:29], s[34:35], -v[118:119]
	v_fma_f64 v[182:183], v[28:29], s[28:29], v[12:13]
	v_fma_f64 v[12:13], v[28:29], s[28:29], -v[12:13]
	v_fma_f64 v[28:29], v[30:31], s[34:35], v[120:121]
	v_fma_f64 v[120:121], v[30:31], s[34:35], -v[120:121]
	v_fma_f64 v[26:27], v[30:31], s[40:41], -v[26:27]
	v_add_f64 v[30:31], v[74:75], v[160:161]
	v_add_f64 v[160:161], v[74:75], v[162:163]
	;; [unrolled: 1-line block ×12, first 2 shown]
	v_mul_f64 v[134:135], v[34:35], s[26:27]
	v_mul_f64 v[136:137], v[34:35], s[12:13]
	;; [unrolled: 1-line block ×3, first 2 shown]
	v_add_f64 v[8:9], v[8:9], v[54:55]
	v_mul_f64 v[34:35], v[34:35], s[44:45]
	v_mul_f64 v[140:141], v[38:39], s[18:19]
	;; [unrolled: 1-line block ×4, first 2 shown]
	v_fma_f64 v[80:81], v[32:33], s[36:37], v[130:131]
	v_fma_f64 v[170:171], v[32:33], s[40:41], v[132:133]
	v_add_f64 v[14:15], v[14:15], v[30:31]
	v_add_f64 v[30:31], v[172:173], v[160:161]
	;; [unrolled: 1-line block ×12, first 2 shown]
	v_fma_f64 v[132:133], v[32:33], s[40:41], -v[132:133]
	v_fma_f64 v[194:195], v[32:33], s[28:29], v[134:135]
	v_mul_f64 v[146:147], v[38:39], s[46:47]
	v_add_f64 v[8:9], v[8:9], v[60:61]
	v_mul_f64 v[148:149], v[38:39], s[26:27]
	v_fma_f64 v[196:197], v[32:33], s[34:35], v[136:137]
	v_fma_f64 v[198:199], v[32:33], s[42:43], v[138:139]
	v_mul_f64 v[38:39], v[38:39], s[16:17]
	v_fma_f64 v[130:131], v[32:33], s[36:37], -v[130:131]
	v_fma_f64 v[134:135], v[32:33], s[28:29], -v[134:135]
	v_add_f64 v[14:15], v[28:29], v[14:15]
	v_add_f64 v[28:29], v[184:185], v[30:31]
	;; [unrolled: 1-line block ×5, first 2 shown]
	v_fma_f64 v[136:137], v[32:33], s[34:35], -v[136:137]
	v_add_f64 v[116:117], v[190:191], v[116:117]
	v_fma_f64 v[92:93], v[32:33], s[42:43], -v[138:139]
	v_fma_f64 v[96:97], v[32:33], s[30:31], v[34:35]
	v_fma_f64 v[32:33], v[32:33], s[30:31], -v[34:35]
	v_add_f64 v[122:123], v[192:193], v[162:163]
	v_add_f64 v[10:11], v[26:27], v[10:11]
	;; [unrolled: 1-line block ×7, first 2 shown]
	v_mul_f64 v[152:153], v[64:65], s[26:27]
	v_mul_f64 v[154:155], v[64:65], s[18:19]
	v_fma_f64 v[34:35], v[36:37], s[40:41], v[140:141]
	v_fma_f64 v[114:115], v[36:37], s[40:41], -v[140:141]
	v_fma_f64 v[118:119], v[36:37], s[34:35], v[142:143]
	v_fma_f64 v[138:139], v[36:37], s[34:35], -v[142:143]
	v_fma_f64 v[140:141], v[36:37], s[30:31], v[144:145]
	v_add_f64 v[14:15], v[80:81], v[14:15]
	v_add_f64 v[28:29], v[170:171], v[28:29]
	v_add_f64 v[30:31], v[132:133], v[30:31]
	v_add_f64 v[80:81], v[194:195], v[82:83]
	v_mul_f64 v[150:151], v[64:65], s[20:21]
	v_mul_f64 v[156:157], v[64:65], s[44:45]
	;; [unrolled: 1-line block ×4, first 2 shown]
	v_fma_f64 v[84:85], v[36:37], s[42:43], v[146:147]
	v_fma_f64 v[124:125], v[36:37], s[28:29], v[148:149]
	v_add_f64 v[82:83], v[196:197], v[112:113]
	v_add_f64 v[112:113], v[198:199], v[116:117]
	v_fma_f64 v[142:143], v[36:37], s[30:31], -v[144:145]
	v_add_f64 v[8:9], v[8:9], v[72:73]
	v_fma_f64 v[120:121], v[36:37], s[42:43], -v[146:147]
	v_fma_f64 v[126:127], v[36:37], s[28:29], -v[148:149]
	v_fma_f64 v[128:129], v[36:37], s[36:37], v[38:39]
	v_fma_f64 v[36:37], v[36:37], s[36:37], -v[38:39]
	v_add_f64 v[96:97], v[96:97], v[122:123]
	v_add_f64 v[10:11], v[32:33], v[10:11]
	;; [unrolled: 1-line block ×6, first 2 shown]
	v_fma_f64 v[146:147], v[56:57], s[28:29], v[152:153]
	v_fma_f64 v[74:75], v[56:57], s[28:29], -v[152:153]
	v_fma_f64 v[92:93], v[56:57], s[40:41], v[154:155]
	v_add_f64 v[14:15], v[34:35], v[14:15]
	v_add_f64 v[28:29], v[118:119], v[28:29]
	;; [unrolled: 1-line block ×4, first 2 shown]
	v_fma_f64 v[38:39], v[56:57], s[42:43], v[150:151]
	v_fma_f64 v[144:145], v[56:57], s[42:43], -v[150:151]
	v_fma_f64 v[116:117], v[56:57], s[40:41], -v[154:155]
	v_fma_f64 v[122:123], v[56:57], s[30:31], v[156:157]
	v_add_f64 v[8:9], v[8:9], v[78:79]
	v_fma_f64 v[130:131], v[56:57], s[30:31], -v[156:157]
	v_fma_f64 v[132:133], v[56:57], s[36:37], v[158:159]
	v_fma_f64 v[134:135], v[56:57], s[36:37], -v[158:159]
	v_fma_f64 v[136:137], v[56:57], s[34:35], v[64:65]
	v_fma_f64 v[56:57], v[56:57], s[34:35], -v[64:65]
	v_add_f64 v[64:65], v[84:85], v[82:83]
	v_add_f64 v[82:83], v[124:125], v[112:113]
	;; [unrolled: 1-line block ×8, first 2 shown]
	v_mov_b32_e32 v96, 0x6e8
	v_add_f64 v[28:29], v[146:147], v[28:29]
	v_add_f64 v[12:13], v[74:75], v[30:31]
	;; [unrolled: 1-line block ×4, first 2 shown]
	v_mul_u32_u24_sdwa v24, v24, v96 dst_sel:DWORD dst_unused:UNUSED_PAD src0_sel:WORD_0 src1_sel:DWORD
	v_add_nc_u32_e32 v74, 0xd00, v177
	v_add_nc_u32_e32 v75, 0x1b00, v177
	v_add_f64 v[90:91], v[8:9], v[86:87]
	v_add_f64 v[34:35], v[122:123], v[64:65]
	;; [unrolled: 1-line block ×9, first 2 shown]
	v_mov_b32_e32 v32, 3
	v_add_nc_u32_e32 v80, 0x2900, v177
	v_lshlrev_b32_sdwa v25, v32, v25 dst_sel:DWORD dst_unused:UNUSED_PAD src0_sel:DWORD src1_sel:BYTE_0
	v_add_f64 v[26:27], v[90:91], v[88:89]
	v_add3_u32 v81, 0, v24, v25
	ds_write2_b64 v81, v[28:29], v[30:31] offset0:34 offset1:51
	ds_write2_b64 v81, v[34:35], v[64:65] offset0:68 offset1:85
	ds_write2_b64 v81, v[82:83], v[56:57] offset0:102 offset1:119
	ds_write2_b64 v81, v[36:37], v[8:9] offset0:136 offset1:153
	ds_write2_b64 v81, v[10:11], v[12:13] offset0:170 offset1:187
	ds_write_b64 v81, v[14:15] offset:1632
	ds_write2_b64 v81, v[26:27], v[38:39] offset1:17
	s_waitcnt lgkmcnt(0)
	s_barrier
	buffer_gl0_inv
	ds_read2_b64 v[24:27], v177 offset1:221
	ds_read2_b64 v[28:31], v74 offset0:26 offset1:247
	ds_read2_b64 v[36:39], v75 offset0:20 offset1:241
	;; [unrolled: 1-line block ×3, first 2 shown]
	ds_read_b64 v[64:65], v177 offset:14144
                                        ; implicit-def: $vgpr56_vgpr57
	s_and_saveexec_b32 s1, s0
	s_cbranch_execz .LBB0_17
; %bb.16:
	v_add_nc_u32_e32 v0, 0x2e00, v177
	v_add_nc_u32_e32 v8, 0x2000, v177
	;; [unrolled: 1-line block ×4, first 2 shown]
	ds_read2_b64 v[0:3], v0 offset0:7 offset1:228
	ds_read2_b64 v[82:85], v8 offset0:13 offset1:234
	ds_read_b64 v[56:57], v177 offset:15368
	ds_read2_b64 v[8:11], v9 offset0:25 offset1:246
	ds_read2_b64 v[12:15], v12 offset0:19 offset1:240
	s_waitcnt lgkmcnt(3)
	v_mov_b32_e32 v103, v85
	v_mov_b32_e32 v105, v83
	;; [unrolled: 1-line block ×4, first 2 shown]
.LBB0_17:
	s_or_b32 exec_lo, exec_lo, s1
	v_add_f64 v[82:83], v[16:17], v[110:111]
	v_add_f64 v[92:93], v[52:53], v[20:21]
	;; [unrolled: 1-line block ×3, first 2 shown]
	v_add_f64 v[76:77], v[76:77], -v[86:87]
	v_add_f64 v[86:87], v[50:51], v[22:23]
	v_add_f64 v[90:91], v[108:109], v[18:19]
	v_add_f64 v[88:89], v[106:107], -v[88:89]
	v_add_f64 v[78:79], v[94:95], -v[78:79]
	;; [unrolled: 1-line block ×4, first 2 shown]
	v_add_f64 v[72:73], v[48:49], v[42:43]
	v_add_f64 v[66:67], v[66:67], -v[68:69]
	v_add_f64 v[68:69], v[46:47], v[44:45]
	s_waitcnt lgkmcnt(0)
	s_barrier
	buffer_gl0_inv
	v_add_f64 v[82:83], v[82:83], v[108:109]
	v_mul_f64 v[118:119], v[92:93], s[34:35]
	v_mul_f64 v[60:61], v[84:85], s[28:29]
	;; [unrolled: 1-line block ×21, first 2 shown]
	v_add_f64 v[52:53], v[82:83], v[52:53]
	v_mul_f64 v[82:83], v[84:85], s[30:31]
	v_mul_f64 v[84:85], v[84:85], s[42:43]
	v_fma_f64 v[156:157], v[88:89], s[26:27], v[60:61]
	v_fma_f64 v[160:161], v[88:89], s[24:25], v[94:95]
	;; [unrolled: 1-line block ×19, first 2 shown]
	v_add_f64 v[50:51], v[52:53], v[50:51]
	v_fma_f64 v[158:159], v[88:89], s[44:45], v[82:83]
	v_fma_f64 v[82:83], v[88:89], s[6:7], v[82:83]
	;; [unrolled: 1-line block ×6, first 2 shown]
	v_add_f64 v[106:107], v[16:17], v[106:107]
	v_add_f64 v[94:95], v[16:17], v[94:95]
	v_mul_f64 v[52:53], v[86:87], s[34:35]
	v_mul_f64 v[86:87], v[86:87], s[30:31]
	;; [unrolled: 1-line block ×5, first 2 shown]
	v_fma_f64 v[188:189], v[70:71], s[20:21], v[134:135]
	v_mul_f64 v[136:137], v[72:73], s[40:41]
	v_mul_f64 v[72:73], v[72:73], s[36:37]
	;; [unrolled: 1-line block ×7, first 2 shown]
	v_add_f64 v[48:49], v[50:51], v[48:49]
	v_fma_f64 v[50:51], v[88:89], s[38:39], v[96:97]
	v_fma_f64 v[96:97], v[88:89], s[16:17], v[96:97]
	;; [unrolled: 1-line block ×7, first 2 shown]
	v_add_f64 v[82:83], v[16:17], v[82:83]
	v_add_f64 v[84:85], v[16:17], v[84:85]
	;; [unrolled: 1-line block ×3, first 2 shown]
	v_fma_f64 v[186:187], v[70:71], s[24:25], v[52:53]
	v_fma_f64 v[52:53], v[70:71], s[12:13], v[52:53]
	v_mul_f64 v[68:69], v[68:69], s[34:35]
	v_fma_f64 v[112:113], v[66:67], s[12:13], v[138:139]
	v_add_f64 v[46:47], v[48:49], v[46:47]
	v_fma_f64 v[48:49], v[78:79], s[20:21], v[120:121]
	v_fma_f64 v[120:121], v[78:79], s[16:17], v[122:123]
	v_fma_f64 v[122:123], v[78:79], s[38:39], v[122:123]
	v_fma_f64 v[78:79], v[78:79], s[18:19], v[92:93]
	v_add_f64 v[92:93], v[16:17], v[156:157]
	v_add_f64 v[156:157], v[16:17], v[158:159]
	;; [unrolled: 1-line block ×11, first 2 shown]
	v_fma_f64 v[60:61], v[70:71], s[16:17], v[128:129]
	v_fma_f64 v[164:165], v[70:71], s[10:11], v[132:133]
	;; [unrolled: 1-line block ×5, first 2 shown]
	v_add_f64 v[44:45], v[46:47], v[44:45]
	v_fma_f64 v[46:47], v[70:71], s[38:39], v[128:129]
	v_fma_f64 v[128:129], v[70:71], s[18:19], v[130:131]
	;; [unrolled: 1-line block ×3, first 2 shown]
	v_add_f64 v[88:89], v[88:89], v[92:93]
	v_add_f64 v[92:93], v[166:167], v[156:157]
	;; [unrolled: 1-line block ×12, first 2 shown]
	v_fma_f64 v[94:95], v[66:67], s[46:47], v[142:143]
	v_fma_f64 v[108:109], v[66:67], s[18:19], v[136:137]
	;; [unrolled: 1-line block ×4, first 2 shown]
	v_add_f64 v[42:43], v[44:45], v[42:43]
	v_fma_f64 v[44:45], v[70:71], s[46:47], v[134:135]
	v_fma_f64 v[70:71], v[70:71], s[44:45], v[86:87]
	;; [unrolled: 1-line block ×4, first 2 shown]
	v_add_f64 v[88:89], v[90:91], v[88:89]
	v_add_f64 v[90:91], v[178:179], v[92:93]
	;; [unrolled: 1-line block ×9, first 2 shown]
	v_fma_f64 v[114:115], v[66:67], s[10:11], v[144:145]
	v_fma_f64 v[136:137], v[66:67], s[6:7], v[140:141]
	;; [unrolled: 1-line block ×5, first 2 shown]
	v_add_f64 v[22:23], v[42:43], v[22:23]
	v_fma_f64 v[42:43], v[66:67], s[20:21], v[142:143]
	v_fma_f64 v[66:67], v[66:67], s[16:17], v[72:73]
	v_add_f64 v[70:71], v[70:71], v[76:77]
	v_add_f64 v[44:45], v[44:45], v[78:79]
	;; [unrolled: 1-line block ×11, first 2 shown]
	v_fma_f64 v[72:73], v[54:55], s[46:47], v[146:147]
	v_fma_f64 v[60:61], v[54:55], s[22:23], v[150:151]
	v_fma_f64 v[78:79], v[54:55], s[18:19], v[150:151]
	v_fma_f64 v[84:85], v[54:55], s[6:7], v[152:153]
	v_fma_f64 v[96:97], v[54:55], s[44:45], v[152:153]
	v_fma_f64 v[106:107], v[54:55], s[38:39], v[154:155]
	v_fma_f64 v[110:111], v[54:55], s[16:17], v[154:155]
	v_add_f64 v[48:49], v[116:117], v[48:49]
	v_add_f64 v[20:21], v[22:23], v[20:21]
	v_fma_f64 v[22:23], v[54:55], s[26:27], v[148:149]
	v_fma_f64 v[54:55], v[54:55], s[24:25], v[68:69]
	v_add_f64 v[66:67], v[66:67], v[70:71]
	v_add_f64 v[44:45], v[118:119], v[44:45]
	;; [unrolled: 1-line block ×24, first 2 shown]
                                        ; implicit-def: $vgpr60_vgpr61
	v_add_f64 v[40:41], v[88:89], v[40:41]
	ds_write2_b64 v81, v[68:69], v[48:49] offset0:34 offset1:51
	ds_write2_b64 v81, v[42:43], v[50:51] offset0:68 offset1:85
	;; [unrolled: 1-line block ×5, first 2 shown]
	ds_write_b64 v81, v[22:23] offset:1632
	ds_write2_b64 v81, v[40:41], v[46:47] offset1:17
	s_waitcnt lgkmcnt(0)
	s_barrier
	buffer_gl0_inv
	ds_read2_b64 v[40:43], v177 offset1:221
	ds_read2_b64 v[44:47], v74 offset0:26 offset1:247
	ds_read2_b64 v[52:55], v75 offset0:20 offset1:241
	;; [unrolled: 1-line block ×3, first 2 shown]
	ds_read_b64 v[68:69], v177 offset:14144
	s_and_saveexec_b32 s1, s0
	s_cbranch_execz .LBB0_19
; %bb.18:
	v_add_nc_u32_e32 v4, 0x2e00, v177
	v_add_nc_u32_e32 v16, 0x2000, v177
	;; [unrolled: 1-line block ×4, first 2 shown]
	ds_read2_b64 v[4:7], v4 offset0:7 offset1:228
	ds_read2_b64 v[70:73], v16 offset0:13 offset1:234
	ds_read_b64 v[60:61], v177 offset:15368
	ds_read2_b64 v[16:19], v17 offset0:25 offset1:246
	ds_read2_b64 v[20:23], v20 offset0:19 offset1:240
	s_waitcnt lgkmcnt(3)
	v_mov_b32_e32 v58, v72
	v_mov_b32_e32 v62, v70
	;; [unrolled: 1-line block ×4, first 2 shown]
.LBB0_19:
	s_or_b32 exec_lo, exec_lo, s1
	s_and_saveexec_b32 s1, vcc_lo
	s_cbranch_execz .LBB0_22
; %bb.20:
	v_lshlrev_b32_e32 v66, 3, v176
	v_mov_b32_e32 v67, 0
	v_mad_u64_u32 v[110:111], null, s2, v176, 0
	v_add_nc_u32_e32 v137, 0xdd, v176
	v_add_nc_u32_e32 v139, 0x1ba, v176
	v_lshlrev_b64 v[70:71], 4, v[66:67]
	v_add_nc_u32_e32 v140, 0x297, v176
	v_mul_lo_u32 v126, s5, v100
	v_mad_u64_u32 v[112:113], null, s2, v137, 0
	v_mad_u64_u32 v[114:115], null, s2, v139, 0
	v_add_co_u32 v66, vcc_lo, s8, v70
	v_add_co_ci_u32_e32 v70, vcc_lo, s9, v71, vcc_lo
	v_mad_u64_u32 v[116:117], null, s2, v140, 0
	v_add_co_u32 v94, vcc_lo, 0xcc0, v66
	v_add_co_ci_u32_e32 v95, vcc_lo, 0, v70, vcc_lo
	v_add_co_u32 v106, vcc_lo, 0xd00, v66
	v_add_co_ci_u32_e32 v107, vcc_lo, 0, v70, vcc_lo
	;; [unrolled: 2-line block ×3, first 2 shown]
	s_clause 0x7
	global_load_dwordx4 v[70:73], v[94:95], off offset:16
	global_load_dwordx4 v[74:77], v[106:107], off offset:32
	;; [unrolled: 1-line block ×8, first 2 shown]
	v_mov_b32_e32 v66, v111
	v_mov_b32_e32 v111, v115
	v_mul_lo_u32 v127, s4, v101
	v_mad_u64_u32 v[100:101], null, s4, v100, 0
	v_mad_u64_u32 v[128:129], null, s3, v176, v[66:67]
	v_mov_b32_e32 v66, v113
	v_mov_b32_e32 v113, v117
	v_add_nc_u32_e32 v146, 0x451, v176
	v_add_nc_u32_e32 v148, 0x60b, v176
	v_add_nc_u32_e32 v144, 0x374, v176
	v_mad_u64_u32 v[137:138], null, s3, v137, v[66:67]
	v_mad_u64_u32 v[138:139], null, s3, v139, v[111:112]
	v_mad_u64_u32 v[139:140], null, s3, v140, v[113:114]
	v_add_nc_u32_e32 v147, 0x52e, v176
	v_add_nc_u32_e32 v149, 0x6e8, v176
	v_mad_u64_u32 v[120:121], null, s2, v146, 0
	v_mad_u64_u32 v[124:125], null, s2, v148, 0
	;; [unrolled: 1-line block ×4, first 2 shown]
	v_add3_u32 v101, v101, v127, v126
	v_mad_u64_u32 v[126:127], null, s2, v149, 0
	v_mov_b32_e32 v117, v121
	v_mov_b32_e32 v121, v125
	;; [unrolled: 1-line block ×4, first 2 shown]
	v_lshlrev_b64 v[100:101], 4, v[100:101]
	v_lshlrev_b64 v[98:99], 4, v[98:99]
	v_mov_b32_e32 v123, v127
	s_mov_b32 s10, 0x8c811c17
	s_mov_b32 s20, 0xa2cf5039
	;; [unrolled: 1-line block ×4, first 2 shown]
	v_mov_b32_e32 v111, v128
	s_mov_b32 s12, 0x523c161c
	s_mov_b32 s13, 0xbfe491b7
	;; [unrolled: 1-line block ×6, first 2 shown]
	v_mad_u64_u32 v[144:145], null, s3, v144, v[115:116]
	v_mov_b32_e32 v113, v137
	v_mov_b32_e32 v115, v138
	s_mov_b32 s4, 0xe8584cab
	s_mov_b32 s5, 0x3febb67a
	;; [unrolled: 1-line block ×4, first 2 shown]
	v_mad_u64_u32 v[145:146], null, s3, v146, v[117:118]
	v_mov_b32_e32 v117, v139
	s_mov_b32 s6, 0x748a0bf8
	s_mov_b32 s16, 0x42522d1b
	;; [unrolled: 1-line block ×4, first 2 shown]
	s_waitcnt vmcnt(7)
	v_mul_f64 v[129:130], v[28:29], v[70:71]
	s_waitcnt vmcnt(6)
	v_mul_f64 v[131:132], v[34:35], v[74:75]
	s_waitcnt vmcnt(5)
	v_mul_f64 v[133:134], v[36:37], v[78:79]
	s_waitcnt vmcnt(4)
	v_mul_f64 v[135:136], v[38:39], v[82:83]
	v_mul_f64 v[36:37], v[36:37], v[80:81]
	v_mul_f64 v[28:29], v[28:29], v[72:73]
	;; [unrolled: 1-line block ×4, first 2 shown]
	s_waitcnt vmcnt(3)
	v_mul_f64 v[140:141], v[26:27], v[86:87]
	s_waitcnt vmcnt(2)
	v_mul_f64 v[142:143], v[64:65], v[90:91]
	v_mul_f64 v[26:27], v[26:27], v[88:89]
	;; [unrolled: 1-line block ×3, first 2 shown]
	s_waitcnt lgkmcnt(3)
	v_fma_f64 v[72:73], v[44:45], v[72:73], v[129:130]
	s_waitcnt lgkmcnt(1)
	v_fma_f64 v[76:77], v[50:51], v[76:77], v[131:132]
	v_fma_f64 v[80:81], v[52:53], v[80:81], v[133:134]
	;; [unrolled: 1-line block ×3, first 2 shown]
	v_fma_f64 v[36:37], v[52:53], v[78:79], -v[36:37]
	v_fma_f64 v[28:29], v[44:45], v[70:71], -v[28:29]
	v_fma_f64 v[34:35], v[50:51], v[74:75], -v[34:35]
	v_fma_f64 v[38:39], v[54:55], v[82:83], -v[38:39]
	v_mad_u64_u32 v[50:51], null, s3, v148, v[121:122]
	v_mad_u64_u32 v[51:52], null, s3, v149, v[123:124]
	v_fma_f64 v[52:53], v[42:43], v[88:89], v[140:141]
	s_waitcnt lgkmcnt(0)
	v_fma_f64 v[54:55], v[68:69], v[92:93], v[142:143]
	v_fma_f64 v[42:43], v[42:43], v[86:87], -v[26:27]
	v_fma_f64 v[64:65], v[68:69], v[90:91], -v[64:65]
	s_waitcnt vmcnt(1)
	v_mul_f64 v[68:69], v[30:31], v[96:97]
	s_waitcnt vmcnt(0)
	v_mul_f64 v[70:71], v[32:33], v[108:109]
	v_mul_f64 v[30:31], v[30:31], v[94:95]
	;; [unrolled: 1-line block ×3, first 2 shown]
	v_add_co_u32 v26, vcc_lo, s14, v100
	v_add_co_ci_u32_e32 v27, vcc_lo, s15, v101, vcc_lo
	v_add_f64 v[86:87], v[72:73], v[76:77]
	v_add_f64 v[74:75], v[80:81], -v[84:85]
	v_add_co_u32 v26, vcc_lo, v26, v98
	v_add_f64 v[78:79], v[28:29], v[34:35]
	v_add_f64 v[82:83], v[36:37], -v[38:39]
	v_add_f64 v[88:89], v[36:37], v[38:39]
	v_add_f64 v[92:93], v[80:81], v[84:85]
	v_add_co_ci_u32_e32 v27, vcc_lo, v27, v99, vcc_lo
	v_mad_u64_u32 v[44:45], null, s3, v147, v[119:120]
	v_add_f64 v[98:99], v[52:53], -v[54:55]
	v_add_f64 v[100:101], v[42:43], v[64:65]
	v_add_f64 v[42:43], v[42:43], -v[64:65]
	v_add_f64 v[52:53], v[52:53], v[54:55]
	v_fma_f64 v[54:55], v[46:47], v[94:95], -v[68:69]
	v_fma_f64 v[64:65], v[48:49], v[106:107], -v[70:71]
	v_fma_f64 v[30:31], v[46:47], v[96:97], v[30:31]
	v_fma_f64 v[32:33], v[48:49], v[108:109], v[32:33]
	v_add_f64 v[45:46], v[72:73], -v[76:77]
	v_add_f64 v[28:29], v[28:29], -v[34:35]
	v_fma_f64 v[70:71], v[86:87], s[20:21], v[24:25]
	v_mul_f64 v[34:35], v[74:75], s[10:11]
	v_mul_f64 v[72:73], v[74:75], s[12:13]
	v_lshlrev_b64 v[90:91], 4, v[110:111]
	v_fma_f64 v[47:48], v[78:79], s[20:21], v[40:41]
	v_mul_f64 v[68:69], v[82:83], s[10:11]
	v_fma_f64 v[76:77], v[88:89], s[20:21], v[40:41]
	v_mul_f64 v[94:95], v[82:83], s[12:13]
	v_fma_f64 v[96:97], v[92:93], s[20:21], v[24:25]
	v_mov_b32_e32 v125, v50
	v_mov_b32_e32 v119, v144
	;; [unrolled: 1-line block ×3, first 2 shown]
	v_mul_f64 v[106:107], v[98:99], s[24:25]
	v_fma_f64 v[108:109], v[100:101], s[20:21], v[40:41]
	v_mul_f64 v[110:111], v[42:43], s[24:25]
	v_fma_f64 v[128:129], v[52:53], s[20:21], v[24:25]
	v_add_f64 v[132:133], v[78:79], v[100:101]
	v_add_f64 v[49:50], v[54:55], v[64:65]
	;; [unrolled: 1-line block ×4, first 2 shown]
	v_add_f64 v[30:31], v[30:31], -v[32:33]
	v_add_f64 v[32:33], v[54:55], -v[64:65]
	v_fma_f64 v[64:65], v[92:93], s[18:19], v[70:71]
	v_fma_f64 v[34:35], v[45:46], s[12:13], -v[34:35]
	v_add_f64 v[136:137], v[82:83], v[42:43]
	v_mov_b32_e32 v121, v145
	v_fma_f64 v[47:48], v[88:89], s[18:19], v[47:48]
	v_fma_f64 v[54:55], v[28:29], s[12:13], -v[68:69]
	v_fma_f64 v[68:69], v[98:99], s[10:11], v[72:73]
	v_fma_f64 v[70:71], v[100:101], s[18:19], v[76:77]
	;; [unrolled: 1-line block ×4, first 2 shown]
	v_mov_b32_e32 v127, v51
	v_add_co_u32 v90, vcc_lo, v26, v90
	v_fma_f64 v[94:95], v[45:46], s[10:11], v[106:107]
	v_fma_f64 v[96:97], v[78:79], s[18:19], v[108:109]
	;; [unrolled: 1-line block ×4, first 2 shown]
	v_add_f64 v[140:141], v[49:50], v[132:133]
	v_lshlrev_b64 v[110:111], 4, v[112:113]
	v_add_f64 v[142:143], v[130:131], v[134:135]
	v_add_f64 v[138:139], v[24:25], v[130:131]
	;; [unrolled: 1-line block ×3, first 2 shown]
	v_fma_f64 v[64:65], v[130:131], -0.5, v[64:65]
	v_fma_f64 v[34:35], v[30:31], s[4:5], v[34:35]
	v_lshlrev_b64 v[112:113], 4, v[114:115]
	v_add_f64 v[114:115], v[74:75], v[98:99]
	v_fma_f64 v[47:48], v[49:50], -0.5, v[47:48]
	v_fma_f64 v[54:55], v[32:33], s[4:5], v[54:55]
	v_add_f64 v[128:129], v[40:41], v[49:50]
	v_add_f64 v[132:133], v[88:89], v[132:133]
	v_fma_f64 v[68:69], v[30:31], s[22:23], v[68:69]
	v_fma_f64 v[70:71], v[49:50], -0.5, v[70:71]
	v_fma_f64 v[72:73], v[32:33], s[22:23], v[72:73]
	v_fma_f64 v[76:77], v[130:131], -0.5, v[76:77]
	v_add_co_ci_u32_e32 v91, vcc_lo, v27, v91, vcc_lo
	v_fma_f64 v[30:31], v[30:31], s[4:5], v[94:95]
	v_fma_f64 v[49:50], v[49:50], -0.5, v[96:97]
	v_fma_f64 v[32:33], v[32:33], s[4:5], v[106:107]
	v_fma_f64 v[94:95], v[130:131], -0.5, v[108:109]
	v_add_f64 v[36:37], v[36:37], v[140:141]
	v_add_f64 v[80:81], v[80:81], v[142:143]
	v_lshlrev_b64 v[96:97], 4, v[116:117]
	v_lshlrev_b64 v[106:107], 4, v[118:119]
	;; [unrolled: 1-line block ×3, first 2 shown]
	v_add_f64 v[118:119], v[136:137], -v[28:29]
	v_fma_f64 v[122:123], v[134:135], -0.5, v[138:139]
	v_fma_f64 v[98:99], v[98:99], s[6:7], v[34:35]
	v_fma_f64 v[34:35], v[100:101], s[16:17], v[47:48]
	;; [unrolled: 1-line block ×4, first 2 shown]
	v_lshlrev_b64 v[108:109], 4, v[120:121]
	v_add_f64 v[114:115], v[114:115], -v[45:46]
	v_fma_f64 v[120:121], v[132:133], -0.5, v[128:129]
	v_fma_f64 v[64:65], v[45:46], s[6:7], v[68:69]
	v_fma_f64 v[44:45], v[78:79], s[16:17], v[70:71]
	;; [unrolled: 1-line block ×8, first 2 shown]
	v_add_f64 v[70:71], v[38:39], v[36:37]
	v_add_f64 v[74:75], v[84:85], v[80:81]
	v_add_co_u32 v92, vcc_lo, v26, v110
	v_add_co_ci_u32_e32 v93, vcc_lo, v27, v111, vcc_lo
	v_mul_f64 v[68:69], v[118:119], s[4:5]
	v_fma_f64 v[28:29], v[118:119], s[22:23], v[122:123]
	v_add_f64 v[34:35], v[98:99], v[34:35]
	v_add_co_u32 v80, vcc_lo, v26, v112
	v_add_f64 v[32:33], v[42:43], -v[54:55]
	v_mul_f64 v[52:53], v[114:115], s[4:5]
	v_fma_f64 v[30:31], v[114:115], s[4:5], v[120:121]
	v_add_co_ci_u32_e32 v81, vcc_lo, v27, v113, vcc_lo
	v_add_f64 v[38:39], v[64:65], v[44:45]
	v_add_f64 v[36:37], v[46:47], -v[72:73]
	v_add_co_u32 v84, vcc_lo, v26, v96
	v_add_f64 v[44:45], v[76:77], v[48:49]
	v_add_f64 v[42:43], v[50:51], -v[82:83]
	v_add_f64 v[48:49], v[40:41], v[70:71]
	v_add_f64 v[46:47], v[24:25], v[74:75]
	v_add_co_ci_u32_e32 v85, vcc_lo, v27, v97, vcc_lo
	v_add_co_u32 v94, vcc_lo, v26, v106
	v_add_co_ci_u32_e32 v95, vcc_lo, v27, v107, vcc_lo
	v_fma_f64 v[50:51], v[68:69], 2.0, v[28:29]
	v_fma_f64 v[70:71], v[98:99], -2.0, v[34:35]
	v_lshlrev_b64 v[86:87], 4, v[124:125]
	v_fma_f64 v[68:69], v[54:55], 2.0, v[32:33]
	v_add_co_u32 v24, vcc_lo, v26, v108
	v_fma_f64 v[52:53], v[52:53], -2.0, v[30:31]
	v_add_co_ci_u32_e32 v25, vcc_lo, v27, v109, vcc_lo
	v_fma_f64 v[74:75], v[64:65], -2.0, v[38:39]
	v_fma_f64 v[72:73], v[72:73], 2.0, v[36:37]
	v_lshlrev_b64 v[88:89], 4, v[126:127]
	v_fma_f64 v[78:79], v[76:77], -2.0, v[44:45]
	v_fma_f64 v[76:77], v[82:83], 2.0, v[42:43]
	v_add_co_u32 v40, vcc_lo, v26, v116
	v_add_co_ci_u32_e32 v41, vcc_lo, v27, v117, vcc_lo
	v_add_co_u32 v54, vcc_lo, v26, v86
	v_add_co_ci_u32_e32 v55, vcc_lo, v27, v87, vcc_lo
	;; [unrolled: 2-line block ×3, first 2 shown]
	global_store_dwordx4 v[90:91], v[46:49], off
	global_store_dwordx4 v[92:93], v[42:45], off
	;; [unrolled: 1-line block ×9, first 2 shown]
	s_and_b32 exec_lo, exec_lo, s0
	s_cbranch_execz .LBB0_22
; %bb.21:
	v_add_nc_u32_e32 v92, 0x99, v176
	v_add_nc_u32_e32 v24, 0xffffffbc, v176
	;; [unrolled: 1-line block ×6, first 2 shown]
	v_cndmask_b32_e64 v24, v24, v92, s0
	v_mad_u64_u32 v[76:77], null, s2, v106, 0
	v_mad_u64_u32 v[78:79], null, s2, v107, 0
	v_lshlrev_b32_e32 v66, 3, v24
	v_mad_u64_u32 v[80:81], null, s2, v108, 0
	v_mad_u64_u32 v[82:83], null, s2, v109, 0
	v_lshlrev_b64 v[24:25], 4, v[66:67]
	v_add_nc_u32_e32 v97, 0x176, v176
	v_add_nc_u32_e32 v99, 0x253, v176
	;; [unrolled: 1-line block ×4, first 2 shown]
	v_add_co_u32 v28, vcc_lo, s8, v24
	v_add_co_ci_u32_e32 v29, vcc_lo, s9, v25, vcc_lo
	v_mad_u64_u32 v[68:69], null, s2, v97, 0
	v_add_co_u32 v24, vcc_lo, 0x800, v28
	v_add_co_ci_u32_e32 v25, vcc_lo, 0, v29, vcc_lo
	v_add_co_u32 v64, vcc_lo, 0xd00, v28
	v_add_co_ci_u32_e32 v65, vcc_lo, 0, v29, vcc_lo
	;; [unrolled: 2-line block ×3, first 2 shown]
	s_clause 0x7
	global_load_dwordx4 v[28:31], v[24:25], off offset:1216
	global_load_dwordx4 v[32:35], v[64:65], off offset:48
	;; [unrolled: 1-line block ×8, first 2 shown]
	v_mad_u64_u32 v[24:25], null, s2, v92, 0
	v_mad_u64_u32 v[70:71], null, s2, v99, 0
	;; [unrolled: 1-line block ×8, first 2 shown]
	v_mov_b32_e32 v25, v92
	v_mad_u64_u32 v[100:101], null, s3, v101, v[75:76]
	v_mov_b32_e32 v69, v97
	v_mov_b32_e32 v71, v98
	v_lshlrev_b64 v[24:25], 4, v[24:25]
	v_mov_b32_e32 v73, v99
	v_lshlrev_b64 v[68:69], 4, v[68:69]
	;; [unrolled: 2-line block ×3, first 2 shown]
	s_waitcnt vmcnt(7)
	v_mul_f64 v[84:85], v[18:19], v[30:31]
	v_mul_f64 v[30:31], v[10:11], v[30:31]
	s_waitcnt vmcnt(6)
	v_mul_f64 v[86:87], v[60:61], v[34:35]
	v_mul_f64 v[34:35], v[56:57], v[34:35]
	;; [unrolled: 3-line block ×6, first 2 shown]
	v_fma_f64 v[10:11], v[10:11], v[28:29], v[84:85]
	v_fma_f64 v[18:19], v[18:19], v[28:29], -v[30:31]
	v_fma_f64 v[28:29], v[56:57], v[32:33], v[86:87]
	v_fma_f64 v[30:31], v[60:61], v[32:33], -v[34:35]
	;; [unrolled: 2-line block ×6, first 2 shown]
	v_mad_u64_u32 v[40:41], null, s3, v106, v[77:78]
	v_mad_u64_u32 v[41:42], null, s3, v107, v[79:80]
	s_waitcnt vmcnt(1)
	v_mul_f64 v[42:43], v[22:23], v[54:55]
	v_mul_f64 v[44:45], v[14:15], v[54:55]
	s_waitcnt vmcnt(0)
	v_mul_f64 v[46:47], v[4:5], v[66:67]
	v_mul_f64 v[48:49], v[0:1], v[66:67]
	v_mad_u64_u32 v[54:55], null, s3, v109, v[83:84]
	v_mad_u64_u32 v[50:51], null, s3, v108, v[81:82]
	v_add_f64 v[55:56], v[10:11], -v[28:29]
	v_add_f64 v[57:58], v[18:19], -v[30:31]
	v_add_f64 v[10:11], v[10:11], v[28:29]
	v_add_f64 v[18:19], v[18:19], v[30:31]
	v_add_f64 v[28:29], v[32:33], -v[36:37]
	v_add_f64 v[30:31], v[34:35], -v[38:39]
	v_add_f64 v[59:60], v[32:33], v[36:37]
	v_add_f64 v[61:62], v[34:35], v[38:39]
	;; [unrolled: 1-line block ×4, first 2 shown]
	v_add_f64 v[2:3], v[12:13], -v[2:3]
	v_add_f64 v[6:7], v[20:21], -v[6:7]
	v_mov_b32_e32 v77, v40
	v_mov_b32_e32 v79, v41
	v_fma_f64 v[14:15], v[14:15], v[52:53], v[42:43]
	v_fma_f64 v[22:23], v[22:23], v[52:53], -v[44:45]
	v_fma_f64 v[0:1], v[0:1], v[64:65], v[46:47]
	v_fma_f64 v[4:5], v[4:5], v[64:65], -v[48:49]
	v_mov_b32_e32 v83, v54
	v_mov_b32_e32 v81, v50
	v_mul_f64 v[12:13], v[55:56], s[24:25]
	v_mul_f64 v[20:21], v[57:58], s[24:25]
	v_fma_f64 v[42:43], v[10:11], s[20:21], v[8:9]
	v_fma_f64 v[44:45], v[18:19], s[20:21], v[16:17]
	v_mul_f64 v[46:47], v[28:29], s[12:13]
	v_mul_f64 v[48:49], v[30:31], s[12:13]
	v_fma_f64 v[51:52], v[59:60], s[20:21], v[8:9]
	v_fma_f64 v[63:64], v[61:62], s[20:21], v[16:17]
	;; [unrolled: 4-line block ×3, first 2 shown]
	v_add_f64 v[94:95], v[66:67], v[10:11]
	v_add_f64 v[96:97], v[84:85], v[18:19]
	;; [unrolled: 1-line block ×4, first 2 shown]
	v_add_f64 v[0:1], v[14:15], -v[0:1]
	v_add_f64 v[4:5], v[22:23], -v[4:5]
	v_fma_f64 v[12:13], v[2:3], s[10:11], v[12:13]
	v_fma_f64 v[14:15], v[6:7], s[10:11], v[20:21]
	;; [unrolled: 1-line block ×8, first 2 shown]
	v_fma_f64 v[50:51], v[2:3], s[12:13], -v[86:87]
	v_fma_f64 v[63:64], v[6:7], s[12:13], -v[88:89]
	v_fma_f64 v[86:87], v[59:60], s[18:19], v[90:91]
	v_fma_f64 v[88:89], v[61:62], s[18:19], v[92:93]
	v_add_f64 v[102:103], v[59:60], v[94:95]
	v_add_f64 v[104:105], v[61:62], v[96:97]
	;; [unrolled: 1-line block ×8, first 2 shown]
	v_fma_f64 v[12:13], v[0:1], s[4:5], v[12:13]
	v_fma_f64 v[14:15], v[4:5], s[4:5], v[14:15]
	v_fma_f64 v[20:21], v[40:41], -0.5, v[20:21]
	v_fma_f64 v[22:23], v[53:54], -0.5, v[22:23]
	v_fma_f64 v[42:43], v[0:1], s[22:23], v[42:43]
	v_fma_f64 v[44:45], v[4:5], s[22:23], v[44:45]
	v_fma_f64 v[46:47], v[40:41], -0.5, v[46:47]
	v_fma_f64 v[48:49], v[53:54], -0.5, v[48:49]
	;; [unrolled: 4-line block ×3, first 2 shown]
	v_lshlrev_b64 v[52:53], 4, v[72:73]
	v_lshlrev_b64 v[72:73], 4, v[76:77]
	v_add_f64 v[76:77], v[90:91], -v[2:3]
	v_lshlrev_b64 v[63:64], 4, v[74:75]
	v_add_f64 v[32:33], v[32:33], v[94:95]
	v_add_f64 v[34:35], v[34:35], v[96:97]
	v_lshlrev_b64 v[74:75], 4, v[78:79]
	v_add_f64 v[78:79], v[92:93], -v[6:7]
	v_fma_f64 v[86:87], v[102:103], -0.5, v[98:99]
	v_fma_f64 v[88:89], v[104:105], -0.5, v[100:101]
	v_fma_f64 v[90:91], v[28:29], s[6:7], v[12:13]
	v_fma_f64 v[28:29], v[30:31], s[6:7], v[14:15]
	;; [unrolled: 1-line block ×12, first 2 shown]
	v_add_co_u32 v56, vcc_lo, v26, v24
	v_add_co_ci_u32_e32 v57, vcc_lo, v27, v25, vcc_lo
	v_add_f64 v[32:33], v[36:37], v[32:33]
	v_add_f64 v[34:35], v[38:39], v[34:35]
	v_mul_f64 v[24:25], v[76:77], s[4:5]
	v_mul_f64 v[60:61], v[78:79], s[4:5]
	v_fma_f64 v[0:1], v[78:79], s[22:23], v[86:87]
	v_fma_f64 v[2:3], v[76:77], s[4:5], v[88:89]
	v_add_co_u32 v58, vcc_lo, v26, v68
	v_add_f64 v[4:5], v[12:13], -v[28:29]
	v_add_f64 v[6:7], v[90:91], v[14:15]
	v_add_co_ci_u32_e32 v59, vcc_lo, v27, v69, vcc_lo
	v_add_f64 v[10:11], v[20:21], -v[44:45]
	v_add_f64 v[12:13], v[42:43], v[22:23]
	v_lshlrev_b64 v[50:51], 4, v[80:81]
	v_lshlrev_b64 v[54:55], 4, v[82:83]
	v_add_f64 v[18:19], v[30:31], -v[48:49]
	v_add_f64 v[20:21], v[46:47], v[40:41]
	v_add_co_u32 v40, vcc_lo, v26, v70
	v_add_co_ci_u32_e32 v41, vcc_lo, v27, v71, vcc_lo
	v_add_f64 v[14:15], v[8:9], v[32:33]
	v_add_f64 v[16:17], v[16:17], v[34:35]
	v_add_co_u32 v52, vcc_lo, v26, v52
	v_fma_f64 v[22:23], v[60:61], 2.0, v[0:1]
	v_fma_f64 v[24:25], v[24:25], -2.0, v[2:3]
	v_add_co_ci_u32_e32 v53, vcc_lo, v27, v53, vcc_lo
	v_add_co_u32 v62, vcc_lo, v26, v63
	v_fma_f64 v[28:29], v[28:29], 2.0, v[4:5]
	v_fma_f64 v[30:31], v[90:91], -2.0, v[6:7]
	v_fma_f64 v[32:33], v[44:45], 2.0, v[10:11]
	v_fma_f64 v[34:35], v[42:43], -2.0, v[12:13]
	v_add_co_ci_u32_e32 v63, vcc_lo, v27, v64, vcc_lo
	v_fma_f64 v[36:37], v[48:49], 2.0, v[18:19]
	v_fma_f64 v[38:39], v[46:47], -2.0, v[20:21]
	v_add_co_u32 v8, vcc_lo, v26, v72
	v_add_co_ci_u32_e32 v9, vcc_lo, v27, v73, vcc_lo
	v_add_co_u32 v42, vcc_lo, v26, v74
	v_add_co_ci_u32_e32 v43, vcc_lo, v27, v75, vcc_lo
	;; [unrolled: 2-line block ×4, first 2 shown]
	global_store_dwordx4 v[56:57], v[14:17], off
	global_store_dwordx4 v[58:59], v[4:7], off
	;; [unrolled: 1-line block ×9, first 2 shown]
.LBB0_22:
	s_endpgm
	.section	.rodata,"a",@progbits
	.p2align	6, 0x0
	.amdhsa_kernel fft_rtc_back_len1989_factors_17_13_9_wgs_153_tpt_153_halfLds_dp_op_CI_CI_sbrr_dirReg
		.amdhsa_group_segment_fixed_size 0
		.amdhsa_private_segment_fixed_size 0
		.amdhsa_kernarg_size 104
		.amdhsa_user_sgpr_count 6
		.amdhsa_user_sgpr_private_segment_buffer 1
		.amdhsa_user_sgpr_dispatch_ptr 0
		.amdhsa_user_sgpr_queue_ptr 0
		.amdhsa_user_sgpr_kernarg_segment_ptr 1
		.amdhsa_user_sgpr_dispatch_id 0
		.amdhsa_user_sgpr_flat_scratch_init 0
		.amdhsa_user_sgpr_private_segment_size 0
		.amdhsa_wavefront_size32 1
		.amdhsa_uses_dynamic_stack 0
		.amdhsa_system_sgpr_private_segment_wavefront_offset 0
		.amdhsa_system_sgpr_workgroup_id_x 1
		.amdhsa_system_sgpr_workgroup_id_y 0
		.amdhsa_system_sgpr_workgroup_id_z 0
		.amdhsa_system_sgpr_workgroup_info 0
		.amdhsa_system_vgpr_workitem_id 0
		.amdhsa_next_free_vgpr 200
		.amdhsa_next_free_sgpr 60
		.amdhsa_reserve_vcc 1
		.amdhsa_reserve_flat_scratch 0
		.amdhsa_float_round_mode_32 0
		.amdhsa_float_round_mode_16_64 0
		.amdhsa_float_denorm_mode_32 3
		.amdhsa_float_denorm_mode_16_64 3
		.amdhsa_dx10_clamp 1
		.amdhsa_ieee_mode 1
		.amdhsa_fp16_overflow 0
		.amdhsa_workgroup_processor_mode 1
		.amdhsa_memory_ordered 1
		.amdhsa_forward_progress 0
		.amdhsa_shared_vgpr_count 0
		.amdhsa_exception_fp_ieee_invalid_op 0
		.amdhsa_exception_fp_denorm_src 0
		.amdhsa_exception_fp_ieee_div_zero 0
		.amdhsa_exception_fp_ieee_overflow 0
		.amdhsa_exception_fp_ieee_underflow 0
		.amdhsa_exception_fp_ieee_inexact 0
		.amdhsa_exception_int_div_zero 0
	.end_amdhsa_kernel
	.text
.Lfunc_end0:
	.size	fft_rtc_back_len1989_factors_17_13_9_wgs_153_tpt_153_halfLds_dp_op_CI_CI_sbrr_dirReg, .Lfunc_end0-fft_rtc_back_len1989_factors_17_13_9_wgs_153_tpt_153_halfLds_dp_op_CI_CI_sbrr_dirReg
                                        ; -- End function
	.section	.AMDGPU.csdata,"",@progbits
; Kernel info:
; codeLenInByte = 18036
; NumSgprs: 62
; NumVgprs: 200
; ScratchSize: 0
; MemoryBound: 1
; FloatMode: 240
; IeeeMode: 1
; LDSByteSize: 0 bytes/workgroup (compile time only)
; SGPRBlocks: 7
; VGPRBlocks: 24
; NumSGPRsForWavesPerEU: 62
; NumVGPRsForWavesPerEU: 200
; Occupancy: 4
; WaveLimiterHint : 1
; COMPUTE_PGM_RSRC2:SCRATCH_EN: 0
; COMPUTE_PGM_RSRC2:USER_SGPR: 6
; COMPUTE_PGM_RSRC2:TRAP_HANDLER: 0
; COMPUTE_PGM_RSRC2:TGID_X_EN: 1
; COMPUTE_PGM_RSRC2:TGID_Y_EN: 0
; COMPUTE_PGM_RSRC2:TGID_Z_EN: 0
; COMPUTE_PGM_RSRC2:TIDIG_COMP_CNT: 0
	.text
	.p2alignl 6, 3214868480
	.fill 48, 4, 3214868480
	.type	__hip_cuid_706a83095464aeba,@object ; @__hip_cuid_706a83095464aeba
	.section	.bss,"aw",@nobits
	.globl	__hip_cuid_706a83095464aeba
__hip_cuid_706a83095464aeba:
	.byte	0                               ; 0x0
	.size	__hip_cuid_706a83095464aeba, 1

	.ident	"AMD clang version 19.0.0git (https://github.com/RadeonOpenCompute/llvm-project roc-6.4.0 25133 c7fe45cf4b819c5991fe208aaa96edf142730f1d)"
	.section	".note.GNU-stack","",@progbits
	.addrsig
	.addrsig_sym __hip_cuid_706a83095464aeba
	.amdgpu_metadata
---
amdhsa.kernels:
  - .args:
      - .actual_access:  read_only
        .address_space:  global
        .offset:         0
        .size:           8
        .value_kind:     global_buffer
      - .offset:         8
        .size:           8
        .value_kind:     by_value
      - .actual_access:  read_only
        .address_space:  global
        .offset:         16
        .size:           8
        .value_kind:     global_buffer
      - .actual_access:  read_only
        .address_space:  global
        .offset:         24
        .size:           8
        .value_kind:     global_buffer
      - .actual_access:  read_only
        .address_space:  global
        .offset:         32
        .size:           8
        .value_kind:     global_buffer
      - .offset:         40
        .size:           8
        .value_kind:     by_value
      - .actual_access:  read_only
        .address_space:  global
        .offset:         48
        .size:           8
        .value_kind:     global_buffer
      - .actual_access:  read_only
        .address_space:  global
        .offset:         56
        .size:           8
        .value_kind:     global_buffer
      - .offset:         64
        .size:           4
        .value_kind:     by_value
      - .actual_access:  read_only
        .address_space:  global
        .offset:         72
        .size:           8
        .value_kind:     global_buffer
      - .actual_access:  read_only
        .address_space:  global
        .offset:         80
        .size:           8
        .value_kind:     global_buffer
      - .actual_access:  read_only
        .address_space:  global
        .offset:         88
        .size:           8
        .value_kind:     global_buffer
      - .actual_access:  write_only
        .address_space:  global
        .offset:         96
        .size:           8
        .value_kind:     global_buffer
    .group_segment_fixed_size: 0
    .kernarg_segment_align: 8
    .kernarg_segment_size: 104
    .language:       OpenCL C
    .language_version:
      - 2
      - 0
    .max_flat_workgroup_size: 153
    .name:           fft_rtc_back_len1989_factors_17_13_9_wgs_153_tpt_153_halfLds_dp_op_CI_CI_sbrr_dirReg
    .private_segment_fixed_size: 0
    .sgpr_count:     62
    .sgpr_spill_count: 0
    .symbol:         fft_rtc_back_len1989_factors_17_13_9_wgs_153_tpt_153_halfLds_dp_op_CI_CI_sbrr_dirReg.kd
    .uniform_work_group_size: 1
    .uses_dynamic_stack: false
    .vgpr_count:     200
    .vgpr_spill_count: 0
    .wavefront_size: 32
    .workgroup_processor_mode: 1
amdhsa.target:   amdgcn-amd-amdhsa--gfx1030
amdhsa.version:
  - 1
  - 2
...

	.end_amdgpu_metadata
